;; amdgpu-corpus repo=ROCm/rocFFT kind=compiled arch=gfx1201 opt=O3
	.text
	.amdgcn_target "amdgcn-amd-amdhsa--gfx1201"
	.amdhsa_code_object_version 6
	.protected	fft_rtc_back_len289_factors_17_17_wgs_119_tpt_17_halfLds_dp_ip_CI_unitstride_sbrr_dirReg ; -- Begin function fft_rtc_back_len289_factors_17_17_wgs_119_tpt_17_halfLds_dp_ip_CI_unitstride_sbrr_dirReg
	.globl	fft_rtc_back_len289_factors_17_17_wgs_119_tpt_17_halfLds_dp_ip_CI_unitstride_sbrr_dirReg
	.p2align	8
	.type	fft_rtc_back_len289_factors_17_17_wgs_119_tpt_17_halfLds_dp_ip_CI_unitstride_sbrr_dirReg,@function
fft_rtc_back_len289_factors_17_17_wgs_119_tpt_17_halfLds_dp_ip_CI_unitstride_sbrr_dirReg: ; @fft_rtc_back_len289_factors_17_17_wgs_119_tpt_17_halfLds_dp_ip_CI_unitstride_sbrr_dirReg
; %bb.0:
	s_load_b128 s[4:7], s[0:1], 0x0
	v_mul_u32_u24_e32 v1, 0xf10, v0
	s_clause 0x1
	s_load_b64 s[8:9], s[0:1], 0x50
	s_load_b64 s[10:11], s[0:1], 0x18
	v_mov_b32_e32 v3, 0
	v_lshrrev_b32_e32 v1, 16, v1
	s_delay_alu instid0(VALU_DEP_1) | instskip(SKIP_1) | instid1(VALU_DEP_4)
	v_mad_co_u64_u32 v[74:75], null, ttmp9, 7, v[1:2]
	v_mov_b32_e32 v1, 0
	v_dual_mov_b32 v2, 0 :: v_dual_mov_b32 v75, v3
	s_delay_alu instid0(VALU_DEP_1) | instskip(SKIP_2) | instid1(VALU_DEP_1)
	v_dual_mov_b32 v7, v74 :: v_dual_mov_b32 v8, v75
	s_wait_kmcnt 0x0
	v_cmp_lt_u64_e64 s2, s[6:7], 2
	s_and_b32 vcc_lo, exec_lo, s2
	s_cbranch_vccnz .LBB0_8
; %bb.1:
	s_load_b64 s[2:3], s[0:1], 0x10
	v_mov_b32_e32 v1, 0
	v_dual_mov_b32 v2, 0 :: v_dual_mov_b32 v5, v74
	v_mov_b32_e32 v6, v75
	s_add_nc_u64 s[12:13], s[10:11], 8
	s_mov_b64 s[14:15], 1
	s_wait_kmcnt 0x0
	s_add_nc_u64 s[16:17], s[2:3], 8
	s_mov_b32 s3, 0
.LBB0_2:                                ; =>This Inner Loop Header: Depth=1
	s_load_b64 s[18:19], s[16:17], 0x0
                                        ; implicit-def: $vgpr7_vgpr8
	s_mov_b32 s2, exec_lo
	s_wait_kmcnt 0x0
	v_or_b32_e32 v4, s19, v6
	s_delay_alu instid0(VALU_DEP_1)
	v_cmpx_ne_u64_e32 0, v[3:4]
	s_wait_alu 0xfffe
	s_xor_b32 s20, exec_lo, s2
	s_cbranch_execz .LBB0_4
; %bb.3:                                ;   in Loop: Header=BB0_2 Depth=1
	s_cvt_f32_u32 s2, s18
	s_cvt_f32_u32 s21, s19
	s_sub_nc_u64 s[24:25], 0, s[18:19]
	s_wait_alu 0xfffe
	s_delay_alu instid0(SALU_CYCLE_1) | instskip(SKIP_1) | instid1(SALU_CYCLE_2)
	s_fmamk_f32 s2, s21, 0x4f800000, s2
	s_wait_alu 0xfffe
	v_s_rcp_f32 s2, s2
	s_delay_alu instid0(TRANS32_DEP_1) | instskip(SKIP_1) | instid1(SALU_CYCLE_2)
	s_mul_f32 s2, s2, 0x5f7ffffc
	s_wait_alu 0xfffe
	s_mul_f32 s21, s2, 0x2f800000
	s_wait_alu 0xfffe
	s_delay_alu instid0(SALU_CYCLE_2) | instskip(SKIP_1) | instid1(SALU_CYCLE_2)
	s_trunc_f32 s21, s21
	s_wait_alu 0xfffe
	s_fmamk_f32 s2, s21, 0xcf800000, s2
	s_cvt_u32_f32 s23, s21
	s_wait_alu 0xfffe
	s_delay_alu instid0(SALU_CYCLE_1) | instskip(SKIP_1) | instid1(SALU_CYCLE_2)
	s_cvt_u32_f32 s22, s2
	s_wait_alu 0xfffe
	s_mul_u64 s[26:27], s[24:25], s[22:23]
	s_wait_alu 0xfffe
	s_mul_hi_u32 s29, s22, s27
	s_mul_i32 s28, s22, s27
	s_mul_hi_u32 s2, s22, s26
	s_mul_i32 s30, s23, s26
	s_wait_alu 0xfffe
	s_add_nc_u64 s[28:29], s[2:3], s[28:29]
	s_mul_hi_u32 s21, s23, s26
	s_mul_hi_u32 s31, s23, s27
	s_add_co_u32 s2, s28, s30
	s_wait_alu 0xfffe
	s_add_co_ci_u32 s2, s29, s21
	s_mul_i32 s26, s23, s27
	s_add_co_ci_u32 s27, s31, 0
	s_wait_alu 0xfffe
	s_add_nc_u64 s[26:27], s[2:3], s[26:27]
	s_wait_alu 0xfffe
	v_add_co_u32 v4, s2, s22, s26
	s_delay_alu instid0(VALU_DEP_1) | instskip(SKIP_1) | instid1(VALU_DEP_1)
	s_cmp_lg_u32 s2, 0
	s_add_co_ci_u32 s23, s23, s27
	v_readfirstlane_b32 s22, v4
	s_wait_alu 0xfffe
	s_delay_alu instid0(VALU_DEP_1)
	s_mul_u64 s[24:25], s[24:25], s[22:23]
	s_wait_alu 0xfffe
	s_mul_hi_u32 s27, s22, s25
	s_mul_i32 s26, s22, s25
	s_mul_hi_u32 s2, s22, s24
	s_mul_i32 s28, s23, s24
	s_wait_alu 0xfffe
	s_add_nc_u64 s[26:27], s[2:3], s[26:27]
	s_mul_hi_u32 s21, s23, s24
	s_mul_hi_u32 s22, s23, s25
	s_wait_alu 0xfffe
	s_add_co_u32 s2, s26, s28
	s_add_co_ci_u32 s2, s27, s21
	s_mul_i32 s24, s23, s25
	s_add_co_ci_u32 s25, s22, 0
	s_wait_alu 0xfffe
	s_add_nc_u64 s[24:25], s[2:3], s[24:25]
	s_wait_alu 0xfffe
	v_add_co_u32 v4, s2, v4, s24
	s_delay_alu instid0(VALU_DEP_1) | instskip(SKIP_1) | instid1(VALU_DEP_1)
	s_cmp_lg_u32 s2, 0
	s_add_co_ci_u32 s2, s23, s25
	v_mul_hi_u32 v13, v5, v4
	s_wait_alu 0xfffe
	v_mad_co_u64_u32 v[7:8], null, v5, s2, 0
	v_mad_co_u64_u32 v[9:10], null, v6, v4, 0
	;; [unrolled: 1-line block ×3, first 2 shown]
	s_delay_alu instid0(VALU_DEP_3) | instskip(SKIP_1) | instid1(VALU_DEP_4)
	v_add_co_u32 v4, vcc_lo, v13, v7
	s_wait_alu 0xfffd
	v_add_co_ci_u32_e32 v7, vcc_lo, 0, v8, vcc_lo
	s_delay_alu instid0(VALU_DEP_2) | instskip(SKIP_1) | instid1(VALU_DEP_2)
	v_add_co_u32 v4, vcc_lo, v4, v9
	s_wait_alu 0xfffd
	v_add_co_ci_u32_e32 v4, vcc_lo, v7, v10, vcc_lo
	s_wait_alu 0xfffd
	v_add_co_ci_u32_e32 v7, vcc_lo, 0, v12, vcc_lo
	s_delay_alu instid0(VALU_DEP_2) | instskip(SKIP_1) | instid1(VALU_DEP_2)
	v_add_co_u32 v4, vcc_lo, v4, v11
	s_wait_alu 0xfffd
	v_add_co_ci_u32_e32 v9, vcc_lo, 0, v7, vcc_lo
	s_delay_alu instid0(VALU_DEP_2) | instskip(SKIP_1) | instid1(VALU_DEP_3)
	v_mul_lo_u32 v10, s19, v4
	v_mad_co_u64_u32 v[7:8], null, s18, v4, 0
	v_mul_lo_u32 v11, s18, v9
	s_delay_alu instid0(VALU_DEP_2) | instskip(NEXT) | instid1(VALU_DEP_2)
	v_sub_co_u32 v7, vcc_lo, v5, v7
	v_add3_u32 v8, v8, v11, v10
	s_delay_alu instid0(VALU_DEP_1) | instskip(SKIP_1) | instid1(VALU_DEP_1)
	v_sub_nc_u32_e32 v10, v6, v8
	s_wait_alu 0xfffd
	v_subrev_co_ci_u32_e64 v10, s2, s19, v10, vcc_lo
	v_add_co_u32 v11, s2, v4, 2
	s_wait_alu 0xf1ff
	v_add_co_ci_u32_e64 v12, s2, 0, v9, s2
	v_sub_co_u32 v13, s2, v7, s18
	v_sub_co_ci_u32_e32 v8, vcc_lo, v6, v8, vcc_lo
	s_wait_alu 0xf1ff
	v_subrev_co_ci_u32_e64 v10, s2, 0, v10, s2
	s_delay_alu instid0(VALU_DEP_3) | instskip(NEXT) | instid1(VALU_DEP_3)
	v_cmp_le_u32_e32 vcc_lo, s18, v13
	v_cmp_eq_u32_e64 s2, s19, v8
	s_wait_alu 0xfffd
	v_cndmask_b32_e64 v13, 0, -1, vcc_lo
	v_cmp_le_u32_e32 vcc_lo, s19, v10
	s_wait_alu 0xfffd
	v_cndmask_b32_e64 v14, 0, -1, vcc_lo
	v_cmp_le_u32_e32 vcc_lo, s18, v7
	;; [unrolled: 3-line block ×3, first 2 shown]
	s_wait_alu 0xfffd
	v_cndmask_b32_e64 v15, 0, -1, vcc_lo
	v_cmp_eq_u32_e32 vcc_lo, s19, v10
	s_wait_alu 0xf1ff
	s_delay_alu instid0(VALU_DEP_2)
	v_cndmask_b32_e64 v7, v15, v7, s2
	s_wait_alu 0xfffd
	v_cndmask_b32_e32 v10, v14, v13, vcc_lo
	v_add_co_u32 v13, vcc_lo, v4, 1
	s_wait_alu 0xfffd
	v_add_co_ci_u32_e32 v14, vcc_lo, 0, v9, vcc_lo
	s_delay_alu instid0(VALU_DEP_3) | instskip(SKIP_2) | instid1(VALU_DEP_3)
	v_cmp_ne_u32_e32 vcc_lo, 0, v10
	s_wait_alu 0xfffd
	v_cndmask_b32_e32 v10, v13, v11, vcc_lo
	v_cndmask_b32_e32 v8, v14, v12, vcc_lo
	v_cmp_ne_u32_e32 vcc_lo, 0, v7
	s_wait_alu 0xfffd
	s_delay_alu instid0(VALU_DEP_2)
	v_dual_cndmask_b32 v7, v4, v10 :: v_dual_cndmask_b32 v8, v9, v8
.LBB0_4:                                ;   in Loop: Header=BB0_2 Depth=1
	s_wait_alu 0xfffe
	s_and_not1_saveexec_b32 s2, s20
	s_cbranch_execz .LBB0_6
; %bb.5:                                ;   in Loop: Header=BB0_2 Depth=1
	v_cvt_f32_u32_e32 v4, s18
	s_sub_co_i32 s20, 0, s18
	s_delay_alu instid0(VALU_DEP_1) | instskip(NEXT) | instid1(TRANS32_DEP_1)
	v_rcp_iflag_f32_e32 v4, v4
	v_mul_f32_e32 v4, 0x4f7ffffe, v4
	s_delay_alu instid0(VALU_DEP_1) | instskip(SKIP_1) | instid1(VALU_DEP_1)
	v_cvt_u32_f32_e32 v4, v4
	s_wait_alu 0xfffe
	v_mul_lo_u32 v7, s20, v4
	s_delay_alu instid0(VALU_DEP_1) | instskip(NEXT) | instid1(VALU_DEP_1)
	v_mul_hi_u32 v7, v4, v7
	v_add_nc_u32_e32 v4, v4, v7
	s_delay_alu instid0(VALU_DEP_1) | instskip(NEXT) | instid1(VALU_DEP_1)
	v_mul_hi_u32 v4, v5, v4
	v_mul_lo_u32 v7, v4, s18
	v_add_nc_u32_e32 v8, 1, v4
	s_delay_alu instid0(VALU_DEP_2) | instskip(NEXT) | instid1(VALU_DEP_1)
	v_sub_nc_u32_e32 v7, v5, v7
	v_subrev_nc_u32_e32 v9, s18, v7
	v_cmp_le_u32_e32 vcc_lo, s18, v7
	s_wait_alu 0xfffd
	s_delay_alu instid0(VALU_DEP_2) | instskip(NEXT) | instid1(VALU_DEP_1)
	v_dual_cndmask_b32 v7, v7, v9 :: v_dual_cndmask_b32 v4, v4, v8
	v_cmp_le_u32_e32 vcc_lo, s18, v7
	s_delay_alu instid0(VALU_DEP_2) | instskip(SKIP_1) | instid1(VALU_DEP_1)
	v_add_nc_u32_e32 v8, 1, v4
	s_wait_alu 0xfffd
	v_dual_cndmask_b32 v7, v4, v8 :: v_dual_mov_b32 v8, v3
.LBB0_6:                                ;   in Loop: Header=BB0_2 Depth=1
	s_wait_alu 0xfffe
	s_or_b32 exec_lo, exec_lo, s2
	s_load_b64 s[20:21], s[12:13], 0x0
	s_delay_alu instid0(VALU_DEP_1)
	v_mul_lo_u32 v4, v8, s18
	v_mul_lo_u32 v11, v7, s19
	v_mad_co_u64_u32 v[9:10], null, v7, s18, 0
	s_add_nc_u64 s[14:15], s[14:15], 1
	s_add_nc_u64 s[12:13], s[12:13], 8
	s_wait_alu 0xfffe
	v_cmp_ge_u64_e64 s2, s[14:15], s[6:7]
	s_add_nc_u64 s[16:17], s[16:17], 8
	s_delay_alu instid0(VALU_DEP_2) | instskip(NEXT) | instid1(VALU_DEP_3)
	v_add3_u32 v4, v10, v11, v4
	v_sub_co_u32 v5, vcc_lo, v5, v9
	s_wait_alu 0xfffd
	s_delay_alu instid0(VALU_DEP_2) | instskip(SKIP_3) | instid1(VALU_DEP_2)
	v_sub_co_ci_u32_e32 v4, vcc_lo, v6, v4, vcc_lo
	s_and_b32 vcc_lo, exec_lo, s2
	s_wait_kmcnt 0x0
	v_mul_lo_u32 v6, s21, v5
	v_mul_lo_u32 v4, s20, v4
	v_mad_co_u64_u32 v[1:2], null, s20, v5, v[1:2]
	s_delay_alu instid0(VALU_DEP_1)
	v_add3_u32 v2, v6, v2, v4
	s_wait_alu 0xfffe
	s_cbranch_vccnz .LBB0_8
; %bb.7:                                ;   in Loop: Header=BB0_2 Depth=1
	v_dual_mov_b32 v5, v7 :: v_dual_mov_b32 v6, v8
	s_branch .LBB0_2
.LBB0_8:
	s_lshl_b64 s[2:3], s[6:7], 3
	v_mul_hi_u32 v5, 0xf0f0f10, v0
	s_wait_alu 0xfffe
	s_add_nc_u64 s[2:3], s[10:11], s[2:3]
	v_mov_b32_e32 v70, 0
	s_load_b64 s[2:3], s[2:3], 0x0
	s_load_b64 s[0:1], s[0:1], 0x20
	v_mov_b32_e32 v71, 0
                                        ; implicit-def: $vgpr10_vgpr11
                                        ; implicit-def: $vgpr18_vgpr19
                                        ; implicit-def: $vgpr26_vgpr27
                                        ; implicit-def: $vgpr42_vgpr43
                                        ; implicit-def: $vgpr66_vgpr67
                                        ; implicit-def: $vgpr62_vgpr63
                                        ; implicit-def: $vgpr58_vgpr59
                                        ; implicit-def: $vgpr54_vgpr55
                                        ; implicit-def: $vgpr50_vgpr51
                                        ; implicit-def: $vgpr46_vgpr47
                                        ; implicit-def: $vgpr38_vgpr39
                                        ; implicit-def: $vgpr22_vgpr23
                                        ; implicit-def: $vgpr14_vgpr15
                                        ; implicit-def: $vgpr34_vgpr35
                                        ; implicit-def: $vgpr30_vgpr31
	s_wait_kmcnt 0x0
	v_mul_lo_u32 v3, s2, v8
	v_mul_lo_u32 v4, s3, v7
	v_mad_co_u64_u32 v[1:2], null, s2, v7, v[1:2]
	v_cmp_gt_u64_e32 vcc_lo, s[0:1], v[7:8]
                                        ; implicit-def: $vgpr6_vgpr7
	s_delay_alu instid0(VALU_DEP_2) | instskip(SKIP_1) | instid1(VALU_DEP_2)
	v_add3_u32 v2, v4, v2, v3
	v_mul_u32_u24_e32 v3, 17, v5
	v_lshlrev_b64_e32 v[68:69], 4, v[1:2]
	s_delay_alu instid0(VALU_DEP_2)
	v_sub_nc_u32_e32 v72, v0, v3
                                        ; implicit-def: $vgpr2_vgpr3
	s_and_saveexec_b32 s1, vcc_lo
; %bb.9:
	v_mov_b32_e32 v73, 0
	s_delay_alu instid0(VALU_DEP_3) | instskip(SKIP_2) | instid1(VALU_DEP_3)
	v_add_co_u32 v2, s0, s8, v68
	s_wait_alu 0xf1ff
	v_add_co_ci_u32_e64 v3, s0, s9, v69, s0
	v_lshlrev_b64_e32 v[0:1], 4, v[72:73]
	v_dual_mov_b32 v70, v72 :: v_dual_mov_b32 v71, v73
	s_delay_alu instid0(VALU_DEP_2) | instskip(SKIP_1) | instid1(VALU_DEP_3)
	v_add_co_u32 v4, s0, v2, v0
	s_wait_alu 0xf1ff
	v_add_co_ci_u32_e64 v5, s0, v3, v1, s0
	s_clause 0x10
	global_load_b128 v[28:31], v[4:5], off
	global_load_b128 v[32:35], v[4:5], off offset:272
	global_load_b128 v[0:3], v[4:5], off offset:544
	;; [unrolled: 1-line block ×16, first 2 shown]
; %bb.10:
	s_wait_alu 0xfffe
	s_or_b32 exec_lo, exec_lo, s1
	s_wait_loadcnt 0xf
	v_add_f64_e32 v[75:76], v[32:33], v[28:29]
	v_add_f64_e32 v[77:78], v[34:35], v[30:31]
	s_wait_loadcnt 0x7
	v_add_f64_e32 v[79:80], v[56:57], v[52:53]
	v_add_f64_e64 v[83:84], v[54:55], -v[58:59]
	s_wait_loadcnt 0x5
	v_add_f64_e64 v[87:88], v[46:47], -v[66:67]
	s_wait_loadcnt 0x4
	v_add_f64_e32 v[93:94], v[40:41], v[36:37]
	s_mov_b32 s34, 0x5d8e7cdc
	s_mov_b32 s36, 0x2a9d6da3
	;; [unrolled: 1-line block ×16, first 2 shown]
	v_add_f64_e64 v[99:100], v[38:39], -v[42:43]
	s_mov_b32 s18, 0x370991
	s_mov_b32 s16, 0x75d4884
	;; [unrolled: 1-line block ×15, first 2 shown]
	v_add_f64_e32 v[75:76], v[0:1], v[75:76]
	v_add_f64_e32 v[77:78], v[2:3], v[77:78]
	s_mov_b32 s1, 0xbfef7484
	s_mov_b32 s43, 0x3fe0d888
	s_wait_alu 0xfffe
	s_mov_b32 s42, s22
	s_mov_b32 s41, 0x3feec746
	;; [unrolled: 1-line block ×13, first 2 shown]
	v_mul_f64_e32 v[197:198], s[38:39], v[83:84]
	v_mul_f64_e32 v[199:200], s[26:27], v[83:84]
	v_mul_hi_u32 v73, 0x24924925, v74
	s_mov_b32 s51, 0x3fc7851a
	s_mov_b32 s50, s20
	v_add_f64_e32 v[75:76], v[12:13], v[75:76]
	v_add_f64_e32 v[77:78], v[14:15], v[77:78]
	s_delay_alu instid0(VALU_DEP_2) | instskip(NEXT) | instid1(VALU_DEP_2)
	v_add_f64_e32 v[75:76], v[20:21], v[75:76]
	v_add_f64_e32 v[77:78], v[22:23], v[77:78]
	s_delay_alu instid0(VALU_DEP_2) | instskip(NEXT) | instid1(VALU_DEP_2)
	;; [unrolled: 3-line block ×5, first 2 shown]
	v_add_f64_e32 v[81:82], v[52:53], v[75:76]
	v_add_f64_e32 v[85:86], v[54:55], v[77:78]
	;; [unrolled: 1-line block ×3, first 2 shown]
	v_add_f64_e64 v[77:78], v[52:53], -v[56:57]
	v_add_f64_e64 v[54:55], v[48:49], -v[60:61]
	v_add_f64_e32 v[52:53], v[62:63], v[50:51]
	v_add_f64_e32 v[56:57], v[56:57], v[81:82]
	;; [unrolled: 1-line block ×5, first 2 shown]
	v_add_f64_e64 v[46:47], v[36:37], -v[40:41]
	s_wait_loadcnt 0x0
	v_add_f64_e64 v[36:37], v[34:35], -v[6:7]
	v_add_f64_e64 v[85:86], v[50:51], -v[62:63]
	;; [unrolled: 1-line block ×3, first 2 shown]
	v_add_f64_e32 v[34:35], v[6:7], v[34:35]
	v_add_f64_e32 v[56:57], v[60:61], v[56:57]
	;; [unrolled: 1-line block ×6, first 2 shown]
	v_add_f64_e64 v[32:33], v[32:33], -v[4:5]
	v_mul_f64_e32 v[62:63], s[26:27], v[36:37]
	v_add_f64_e32 v[56:57], v[64:65], v[56:57]
	v_add_f64_e32 v[58:59], v[66:67], v[58:59]
	v_mul_f64_e32 v[64:65], s[24:25], v[36:37]
	v_mul_f64_e32 v[66:67], s[22:23], v[36:37]
	;; [unrolled: 1-line block ×3, first 2 shown]
	v_fma_f64 v[117:118], v[38:39], s[10:11], v[62:63]
	v_fma_f64 v[62:63], v[38:39], s[10:11], -v[62:63]
	v_mul_f64_e32 v[101:102], s[24:25], v[32:33]
	v_mul_f64_e32 v[103:104], s[22:23], v[32:33]
	v_add_f64_e32 v[127:128], v[40:41], v[56:57]
	v_add_f64_e32 v[129:130], v[42:43], v[58:59]
	v_mul_f64_e32 v[40:41], s[34:35], v[36:37]
	v_mul_f64_e32 v[42:43], s[36:37], v[36:37]
	;; [unrolled: 1-line block ×5, first 2 shown]
	v_fma_f64 v[119:120], v[38:39], s[6:7], v[64:65]
	v_fma_f64 v[121:122], v[38:39], s[6:7], -v[64:65]
	v_fma_f64 v[123:124], v[38:39], s[2:3], v[66:67]
	v_fma_f64 v[125:126], v[38:39], s[2:3], -v[66:67]
	v_mul_f64_e32 v[64:65], s[30:31], v[32:33]
	v_mul_f64_e32 v[66:67], s[28:29], v[32:33]
	v_fma_f64 v[133:134], v[34:35], s[10:11], -v[95:96]
	v_fma_f64 v[143:144], v[34:35], s[10:11], v[95:96]
	v_fma_f64 v[145:146], v[34:35], s[6:7], -v[101:102]
	v_fma_f64 v[147:148], v[34:35], s[6:7], v[101:102]
	v_fma_f64 v[149:150], v[34:35], s[2:3], -v[103:104]
	v_fma_f64 v[151:152], v[34:35], s[2:3], v[103:104]
	v_add_f64_e32 v[135:136], v[28:29], v[117:118]
	v_add_f64_e32 v[117:118], v[28:29], v[62:63]
	v_fma_f64 v[89:90], v[38:39], s[18:19], v[40:41]
	v_fma_f64 v[40:41], v[38:39], s[18:19], -v[40:41]
	v_fma_f64 v[91:92], v[38:39], s[16:17], v[42:43]
	v_fma_f64 v[42:43], v[38:39], s[16:17], -v[42:43]
	;; [unrolled: 2-line block ×5, first 2 shown]
	v_mul_f64_e32 v[36:37], s[34:35], v[32:33]
	v_mul_f64_e32 v[38:39], s[36:37], v[32:33]
	;; [unrolled: 1-line block ×3, first 2 shown]
	v_fma_f64 v[113:114], v[34:35], s[14:15], -v[64:65]
	v_fma_f64 v[64:65], v[34:35], s[14:15], v[64:65]
	v_fma_f64 v[131:132], v[34:35], s[12:13], -v[66:67]
	v_fma_f64 v[66:67], v[34:35], s[12:13], v[66:67]
	v_add_f64_e32 v[105:106], v[28:29], v[89:90]
	v_add_f64_e32 v[103:104], v[28:29], v[40:41]
	;; [unrolled: 1-line block ×7, first 2 shown]
	v_fma_f64 v[107:108], v[34:35], s[18:19], -v[36:37]
	v_fma_f64 v[36:37], v[34:35], s[18:19], v[36:37]
	v_fma_f64 v[109:110], v[34:35], s[16:17], -v[38:39]
	v_fma_f64 v[38:39], v[34:35], s[16:17], v[38:39]
	v_fma_f64 v[153:154], v[34:35], s[0:1], -v[32:33]
	v_fma_f64 v[155:156], v[34:35], s[0:1], v[32:33]
	v_add_f64_e32 v[89:90], v[30:31], v[131:132]
	v_add_f64_e32 v[131:132], v[28:29], v[123:124]
	;; [unrolled: 1-line block ×25, first 2 shown]
	v_add_f64_e64 v[141:142], v[20:21], -v[24:25]
	v_add_f64_e32 v[20:21], v[24:25], v[127:128]
	v_add_f64_e64 v[24:25], v[2:3], -v[10:11]
	v_add_f64_e64 v[125:126], v[22:23], -v[26:27]
	v_add_f64_e32 v[22:23], v[26:27], v[129:130]
	v_add_f64_e32 v[26:27], v[8:9], v[0:1]
	;; [unrolled: 1-line block ×3, first 2 shown]
	v_mul_f64_e32 v[143:144], s[20:21], v[24:25]
	s_delay_alu instid0(VALU_DEP_1) | instskip(NEXT) | instid1(VALU_DEP_1)
	v_fma_f64 v[127:128], v[26:27], s[0:1], v[143:144]
	v_add_f64_e32 v[127:128], v[127:128], v[137:138]
	v_mul_f64_e32 v[137:138], s[42:43], v[24:25]
	s_delay_alu instid0(VALU_DEP_1) | instskip(NEXT) | instid1(VALU_DEP_1)
	v_fma_f64 v[129:130], v[26:27], s[2:3], v[137:138]
	v_add_f64_e32 v[129:130], v[129:130], v[135:136]
	;; [unrolled: 4-line block ×4, first 2 shown]
	v_add_f64_e64 v[147:148], v[14:15], -v[18:19]
	s_delay_alu instid0(VALU_DEP_1) | instskip(NEXT) | instid1(VALU_DEP_1)
	v_mul_f64_e32 v[151:152], s[40:41], v[147:148]
	v_fma_f64 v[153:154], v[149:150], s[10:11], v[151:152]
	s_delay_alu instid0(VALU_DEP_1) | instskip(SKIP_1) | instid1(VALU_DEP_1)
	v_add_f64_e32 v[127:128], v[153:154], v[127:128]
	v_mul_f64_e32 v[153:154], s[46:47], v[147:148]
	v_fma_f64 v[155:156], v[149:150], s[16:17], v[153:154]
	s_delay_alu instid0(VALU_DEP_1) | instskip(SKIP_1) | instid1(VALU_DEP_1)
	v_add_f64_e32 v[129:130], v[155:156], v[129:130]
	;; [unrolled: 4-line block ×22, first 2 shown]
	v_fma_f64 v[129:130], v[79:80], s[14:15], v[197:198]
	v_add_f64_e32 v[133:134], v[129:130], v[133:134]
	v_fma_f64 v[129:130], v[79:80], s[10:11], v[199:200]
	s_delay_alu instid0(VALU_DEP_1) | instskip(SKIP_1) | instid1(VALU_DEP_1)
	v_add_f64_e32 v[130:131], v[129:130], v[131:132]
	v_sub_nc_u32_e32 v129, v74, v73
	v_lshrrev_b32_e32 v129, 1, v129
	s_delay_alu instid0(VALU_DEP_1) | instskip(NEXT) | instid1(VALU_DEP_1)
	v_add_nc_u32_e32 v73, v129, v73
	v_lshrrev_b32_e32 v73, 2, v73
	s_delay_alu instid0(VALU_DEP_1) | instskip(NEXT) | instid1(VALU_DEP_1)
	v_mul_lo_u32 v73, v73, 7
	v_sub_nc_u32_e32 v73, v74, v73
	s_delay_alu instid0(VALU_DEP_1) | instskip(NEXT) | instid1(VALU_DEP_1)
	v_mul_u32_u24_e32 v73, 0x121, v73
	v_lshlrev_b32_e32 v201, 3, v73
	v_add_f64_e32 v[73:74], v[18:19], v[14:15]
	v_add_f64_e32 v[14:15], v[18:19], v[22:23]
	v_fma_f64 v[22:23], v[26:27], s[14:15], -v[145:146]
	v_mul_f64_e32 v[145:146], s[22:23], v[77:78]
	v_add_nc_u32_e32 v202, 0, v201
	s_delay_alu instid0(VALU_DEP_1)
	v_mad_u32_u24 v129, 0x88, v72, v202
	ds_store_2addr_b64 v129, v[127:128], v[195:196] offset0:4 offset1:5
	ds_store_2addr_b64 v129, v[133:134], v[130:131] offset0:6 offset1:7
	v_add_f64_e64 v[127:128], v[12:13], -v[16:17]
	v_add_f64_e32 v[12:13], v[16:17], v[20:21]
	v_mul_f64_e32 v[16:17], s[44:45], v[24:25]
	v_fma_f64 v[20:21], v[26:27], s[10:11], -v[135:136]
	v_add_f64_e32 v[22:23], v[22:23], v[121:122]
	v_add_f64_e64 v[121:122], v[0:1], -v[8:9]
	v_add_f64_e32 v[0:1], v[8:9], v[12:13]
	v_fma_f64 v[18:19], v[26:27], s[18:19], v[16:17]
	v_fma_f64 v[16:17], v[26:27], s[18:19], -v[16:17]
	v_add_f64_e32 v[20:21], v[20:21], v[119:120]
	v_fma_f64 v[8:9], v[26:27], s[0:1], -v[143:144]
	v_mul_f64_e32 v[12:13], s[28:29], v[24:25]
	v_add_f64_e32 v[0:1], v[4:5], v[0:1]
	v_add_f64_e32 v[18:19], v[18:19], v[123:124]
	;; [unrolled: 1-line block ×3, first 2 shown]
	v_mul_f64_e32 v[28:29], s[22:23], v[147:148]
	v_add_f64_e32 v[8:9], v[8:9], v[115:116]
	s_delay_alu instid0(VALU_DEP_2) | instskip(SKIP_1) | instid1(VALU_DEP_2)
	v_fma_f64 v[119:120], v[149:150], s[2:3], v[28:29]
	v_fma_f64 v[28:29], v[149:150], s[2:3], -v[28:29]
	v_add_f64_e32 v[18:19], v[119:120], v[18:19]
	s_delay_alu instid0(VALU_DEP_2) | instskip(SKIP_1) | instid1(VALU_DEP_1)
	v_add_f64_e32 v[16:17], v[28:29], v[16:17]
	v_fma_f64 v[28:29], v[149:150], s[18:19], -v[155:156]
	v_add_f64_e32 v[20:21], v[28:29], v[20:21]
	v_fma_f64 v[28:29], v[149:150], s[12:13], -v[157:158]
	s_delay_alu instid0(VALU_DEP_1) | instskip(SKIP_1) | instid1(VALU_DEP_1)
	v_add_f64_e32 v[22:23], v[28:29], v[22:23]
	v_mul_f64_e32 v[28:29], s[46:47], v[125:126]
	v_fma_f64 v[119:120], v[30:31], s[16:17], v[28:29]
	v_fma_f64 v[28:29], v[30:31], s[16:17], -v[28:29]
	s_delay_alu instid0(VALU_DEP_2) | instskip(NEXT) | instid1(VALU_DEP_2)
	v_add_f64_e32 v[18:19], v[119:120], v[18:19]
	v_add_f64_e32 v[16:17], v[28:29], v[16:17]
	v_fma_f64 v[28:29], v[30:31], s[2:3], -v[163:164]
	s_delay_alu instid0(VALU_DEP_1) | instskip(SKIP_1) | instid1(VALU_DEP_1)
	v_add_f64_e32 v[20:21], v[28:29], v[20:21]
	v_fma_f64 v[28:29], v[30:31], s[6:7], -v[165:166]
	v_add_f64_e32 v[22:23], v[28:29], v[22:23]
	v_mul_f64_e32 v[28:29], s[24:25], v[99:100]
	s_delay_alu instid0(VALU_DEP_1) | instskip(SKIP_1) | instid1(VALU_DEP_2)
	v_fma_f64 v[119:120], v[93:94], s[6:7], v[28:29]
	v_fma_f64 v[28:29], v[93:94], s[6:7], -v[28:29]
	v_add_f64_e32 v[18:19], v[119:120], v[18:19]
	s_delay_alu instid0(VALU_DEP_2) | instskip(SKIP_1) | instid1(VALU_DEP_1)
	v_add_f64_e32 v[16:17], v[28:29], v[16:17]
	v_fma_f64 v[28:29], v[93:94], s[12:13], -v[171:172]
	v_add_f64_e32 v[20:21], v[28:29], v[20:21]
	v_fma_f64 v[28:29], v[93:94], s[18:19], -v[173:174]
	s_delay_alu instid0(VALU_DEP_1) | instskip(SKIP_1) | instid1(VALU_DEP_1)
	v_add_f64_e32 v[22:23], v[28:29], v[22:23]
	v_mul_f64_e32 v[28:29], s[38:39], v[87:88]
	v_fma_f64 v[119:120], v[60:61], s[14:15], v[28:29]
	v_fma_f64 v[28:29], v[60:61], s[14:15], -v[28:29]
	s_delay_alu instid0(VALU_DEP_2) | instskip(NEXT) | instid1(VALU_DEP_2)
	v_add_f64_e32 v[18:19], v[119:120], v[18:19]
	v_add_f64_e32 v[16:17], v[28:29], v[16:17]
	v_fma_f64 v[28:29], v[60:61], s[16:17], -v[179:180]
	s_delay_alu instid0(VALU_DEP_1) | instskip(SKIP_1) | instid1(VALU_DEP_1)
	v_add_f64_e32 v[20:21], v[28:29], v[20:21]
	v_fma_f64 v[28:29], v[60:61], s[0:1], -v[181:182]
	v_add_f64_e32 v[22:23], v[28:29], v[22:23]
	v_mul_f64_e32 v[28:29], s[26:27], v[85:86]
	s_delay_alu instid0(VALU_DEP_1) | instskip(SKIP_1) | instid1(VALU_DEP_2)
	v_fma_f64 v[119:120], v[81:82], s[10:11], v[28:29]
	v_fma_f64 v[28:29], v[81:82], s[10:11], -v[28:29]
	v_add_f64_e32 v[18:19], v[119:120], v[18:19]
	s_delay_alu instid0(VALU_DEP_2) | instskip(SKIP_1) | instid1(VALU_DEP_1)
	v_add_f64_e32 v[16:17], v[28:29], v[16:17]
	v_fma_f64 v[28:29], v[81:82], s[0:1], -v[187:188]
	v_add_f64_e32 v[20:21], v[28:29], v[20:21]
	v_fma_f64 v[28:29], v[81:82], s[16:17], -v[189:190]
	s_delay_alu instid0(VALU_DEP_1) | instskip(SKIP_1) | instid1(VALU_DEP_1)
	v_add_f64_e32 v[22:23], v[28:29], v[22:23]
	v_mul_f64_e32 v[28:29], s[52:53], v[83:84]
	v_fma_f64 v[119:120], v[79:80], s[12:13], v[28:29]
	v_fma_f64 v[28:29], v[79:80], s[12:13], -v[28:29]
	s_delay_alu instid0(VALU_DEP_2) | instskip(NEXT) | instid1(VALU_DEP_2)
	v_add_f64_e32 v[18:19], v[119:120], v[18:19]
	v_add_f64_e32 v[16:17], v[28:29], v[16:17]
	v_fma_f64 v[28:29], v[79:80], s[14:15], -v[197:198]
	v_add_f64_e32 v[119:120], v[10:11], v[2:3]
	v_add_f64_e32 v[2:3], v[10:11], v[14:15]
	v_fma_f64 v[10:11], v[26:27], s[2:3], -v[137:138]
	v_fma_f64 v[14:15], v[26:27], s[12:13], -v[12:13]
	v_add_f64_e32 v[20:21], v[28:29], v[20:21]
	v_fma_f64 v[28:29], v[79:80], s[10:11], -v[199:200]
	s_delay_alu instid0(VALU_DEP_4) | instskip(NEXT) | instid1(VALU_DEP_4)
	v_add_f64_e32 v[10:11], v[10:11], v[117:118]
	v_add_f64_e32 v[14:15], v[14:15], v[111:112]
	s_delay_alu instid0(VALU_DEP_3) | instskip(SKIP_4) | instid1(VALU_DEP_2)
	v_add_f64_e32 v[22:23], v[28:29], v[22:23]
	ds_store_2addr_b64 v129, v[18:19], v[16:17] offset0:8 offset1:9
	ds_store_2addr_b64 v129, v[22:23], v[20:21] offset0:10 offset1:11
	v_fma_f64 v[20:21], v[149:150], s[10:11], -v[151:152]
	v_mul_f64_e32 v[16:17], s[24:25], v[24:25]
	v_add_f64_e32 v[8:9], v[20:21], v[8:9]
	v_fma_f64 v[20:21], v[149:150], s[16:17], -v[153:154]
	s_delay_alu instid0(VALU_DEP_3) | instskip(SKIP_1) | instid1(VALU_DEP_3)
	v_fma_f64 v[18:19], v[26:27], s[6:7], -v[16:17]
	v_fma_f64 v[4:5], v[26:27], s[6:7], v[16:17]
	v_add_f64_e32 v[10:11], v[20:21], v[10:11]
	v_mul_f64_e32 v[20:21], s[24:25], v[147:148]
	s_delay_alu instid0(VALU_DEP_4) | instskip(NEXT) | instid1(VALU_DEP_4)
	v_add_f64_e32 v[18:19], v[18:19], v[113:114]
	v_add_f64_e32 v[4:5], v[4:5], v[109:110]
	v_mul_f64_e32 v[109:110], s[46:47], v[46:47]
	s_delay_alu instid0(VALU_DEP_4) | instskip(NEXT) | instid1(VALU_DEP_1)
	v_fma_f64 v[22:23], v[149:150], s[6:7], -v[20:21]
	v_add_f64_e32 v[14:15], v[22:23], v[14:15]
	v_mul_f64_e32 v[22:23], s[50:51], v[147:148]
	s_delay_alu instid0(VALU_DEP_1) | instskip(NEXT) | instid1(VALU_DEP_1)
	v_fma_f64 v[28:29], v[149:150], s[0:1], -v[22:23]
	v_add_f64_e32 v[18:19], v[28:29], v[18:19]
	v_fma_f64 v[28:29], v[30:31], s[18:19], -v[159:160]
	s_delay_alu instid0(VALU_DEP_1) | instskip(SKIP_1) | instid1(VALU_DEP_1)
	v_add_f64_e32 v[8:9], v[28:29], v[8:9]
	v_fma_f64 v[28:29], v[30:31], s[14:15], -v[161:162]
	v_add_f64_e32 v[10:11], v[28:29], v[10:11]
	v_mul_f64_e32 v[28:29], s[20:21], v[125:126]
	s_delay_alu instid0(VALU_DEP_1) | instskip(NEXT) | instid1(VALU_DEP_1)
	v_fma_f64 v[111:112], v[30:31], s[0:1], -v[28:29]
	v_add_f64_e32 v[14:15], v[111:112], v[14:15]
	v_mul_f64_e32 v[111:112], s[40:41], v[125:126]
	s_delay_alu instid0(VALU_DEP_1) | instskip(NEXT) | instid1(VALU_DEP_1)
	v_fma_f64 v[113:114], v[30:31], s[10:11], -v[111:112]
	v_add_f64_e32 v[18:19], v[113:114], v[18:19]
	v_fma_f64 v[113:114], v[93:94], s[14:15], -v[167:168]
	s_delay_alu instid0(VALU_DEP_1) | instskip(SKIP_1) | instid1(VALU_DEP_1)
	v_add_f64_e32 v[8:9], v[113:114], v[8:9]
	v_fma_f64 v[113:114], v[93:94], s[0:1], -v[169:170]
	v_add_f64_e32 v[10:11], v[113:114], v[10:11]
	v_mul_f64_e32 v[113:114], s[42:43], v[99:100]
	s_delay_alu instid0(VALU_DEP_1) | instskip(NEXT) | instid1(VALU_DEP_1)
	;; [unrolled: 13-line block ×5, first 2 shown]
	v_fma_f64 v[136:137], v[79:80], s[18:19], -v[134:135]
	v_add_f64_e32 v[14:15], v[136:137], v[14:15]
	v_mul_f64_e32 v[136:137], s[22:23], v[83:84]
	s_delay_alu instid0(VALU_DEP_1) | instskip(NEXT) | instid1(VALU_DEP_1)
	v_fma_f64 v[143:144], v[79:80], s[2:3], -v[136:137]
	v_add_f64_e32 v[18:19], v[143:144], v[18:19]
	v_add_f64_e32 v[143:144], v[6:7], v[2:3]
	v_fma_f64 v[2:3], v[26:27], s[12:13], v[12:13]
	ds_store_2addr_b64 v129, v[10:11], v[8:9] offset0:12 offset1:13
	ds_store_2addr_b64 v129, v[18:19], v[14:15] offset0:14 offset1:15
	v_fma_f64 v[10:11], v[149:150], s[6:7], v[20:21]
	v_mul_f64_e32 v[6:7], s[36:37], v[24:25]
	v_add_f64_e32 v[2:3], v[2:3], v[107:108]
	v_mul_f64_e32 v[107:108], s[42:43], v[46:47]
	s_delay_alu instid0(VALU_DEP_3) | instskip(NEXT) | instid1(VALU_DEP_3)
	v_fma_f64 v[8:9], v[26:27], s[16:17], v[6:7]
	v_add_f64_e32 v[2:3], v[10:11], v[2:3]
	v_fma_f64 v[10:11], v[149:150], s[0:1], v[22:23]
	s_delay_alu instid0(VALU_DEP_3) | instskip(NEXT) | instid1(VALU_DEP_2)
	v_add_f64_e32 v[8:9], v[8:9], v[105:106]
	v_add_f64_e32 v[4:5], v[10:11], v[4:5]
	v_mul_f64_e32 v[10:11], s[30:31], v[147:148]
	s_delay_alu instid0(VALU_DEP_1) | instskip(NEXT) | instid1(VALU_DEP_1)
	v_fma_f64 v[12:13], v[149:150], s[14:15], v[10:11]
	v_add_f64_e32 v[8:9], v[12:13], v[8:9]
	v_fma_f64 v[12:13], v[30:31], s[0:1], v[28:29]
	s_delay_alu instid0(VALU_DEP_1) | instskip(SKIP_2) | instid1(VALU_DEP_2)
	v_add_f64_e32 v[2:3], v[12:13], v[2:3]
	v_fma_f64 v[12:13], v[30:31], s[10:11], v[111:112]
	v_mul_f64_e32 v[111:112], s[24:25], v[50:51]
	v_add_f64_e32 v[4:5], v[12:13], v[4:5]
	v_mul_f64_e32 v[12:13], s[28:29], v[125:126]
	v_mul_f64_e32 v[125:126], s[28:29], v[54:55]
	s_delay_alu instid0(VALU_DEP_2) | instskip(NEXT) | instid1(VALU_DEP_1)
	v_fma_f64 v[14:15], v[30:31], s[12:13], v[12:13]
	v_add_f64_e32 v[8:9], v[14:15], v[8:9]
	v_fma_f64 v[14:15], v[93:94], s[2:3], v[113:114]
	v_mul_f64_e32 v[113:114], s[40:41], v[50:51]
	s_delay_alu instid0(VALU_DEP_2) | instskip(SKIP_2) | instid1(VALU_DEP_2)
	v_add_f64_e32 v[2:3], v[14:15], v[2:3]
	v_fma_f64 v[14:15], v[93:94], s[16:17], v[115:116]
	v_mul_f64_e32 v[115:116], s[34:35], v[50:51]
	v_add_f64_e32 v[4:5], v[14:15], v[4:5]
	v_mul_f64_e32 v[14:15], s[26:27], v[99:100]
	s_delay_alu instid0(VALU_DEP_1) | instskip(NEXT) | instid1(VALU_DEP_1)
	v_fma_f64 v[16:17], v[93:94], s[10:11], v[14:15]
	v_add_f64_e32 v[8:9], v[16:17], v[8:9]
	v_fma_f64 v[16:17], v[60:61], s[10:11], v[117:118]
	v_mul_f64_e32 v[117:118], s[22:23], v[54:55]
	s_delay_alu instid0(VALU_DEP_2) | instskip(SKIP_2) | instid1(VALU_DEP_2)
	v_add_f64_e32 v[2:3], v[16:17], v[2:3]
	v_fma_f64 v[16:17], v[60:61], s[18:19], v[123:124]
	v_mul_f64_e32 v[123:124], s[38:39], v[54:55]
	v_add_f64_e32 v[4:5], v[16:17], v[4:5]
	v_mul_f64_e32 v[16:17], s[24:25], v[87:88]
	v_mul_f64_e32 v[87:88], s[24:25], v[127:128]
	s_delay_alu instid0(VALU_DEP_2) | instskip(NEXT) | instid1(VALU_DEP_1)
	v_fma_f64 v[18:19], v[60:61], s[6:7], v[16:17]
	v_add_f64_e32 v[8:9], v[18:19], v[8:9]
	v_fma_f64 v[18:19], v[81:82], s[14:15], v[130:131]
	v_mul_f64_e32 v[130:131], s[20:21], v[77:78]
	s_delay_alu instid0(VALU_DEP_2) | instskip(SKIP_1) | instid1(VALU_DEP_1)
	v_add_f64_e32 v[2:3], v[18:19], v[2:3]
	v_fma_f64 v[18:19], v[81:82], s[12:13], v[132:133]
	v_add_f64_e32 v[4:5], v[18:19], v[4:5]
	v_mul_f64_e32 v[18:19], s[22:23], v[85:86]
	v_mul_f64_e32 v[85:86], s[30:31], v[127:128]
	s_delay_alu instid0(VALU_DEP_2) | instskip(NEXT) | instid1(VALU_DEP_1)
	v_fma_f64 v[20:21], v[81:82], s[2:3], v[18:19]
	v_add_f64_e32 v[8:9], v[20:21], v[8:9]
	v_fma_f64 v[20:21], v[79:80], s[18:19], v[134:135]
	v_mul_f64_e32 v[134:135], s[44:45], v[77:78]
	s_delay_alu instid0(VALU_DEP_2) | instskip(SKIP_1) | instid1(VALU_DEP_1)
	v_add_f64_e32 v[2:3], v[20:21], v[2:3]
	v_fma_f64 v[20:21], v[79:80], s[2:3], v[136:137]
	v_add_f64_e32 v[4:5], v[20:21], v[4:5]
	v_mul_f64_e32 v[20:21], s[20:21], v[83:84]
	v_mul_f64_e32 v[83:84], s[24:25], v[121:122]
	s_delay_alu instid0(VALU_DEP_2) | instskip(NEXT) | instid1(VALU_DEP_1)
	v_fma_f64 v[22:23], v[79:80], s[0:1], v[20:21]
	v_add_f64_e32 v[8:9], v[22:23], v[8:9]
	ds_store_2addr_b64 v129, v[2:3], v[4:5] offset0:2 offset1:3
	ds_store_2addr_b64 v129, v[0:1], v[8:9] offset1:1
	v_fma_f64 v[0:1], v[26:27], s[16:17], -v[6:7]
	v_fma_f64 v[4:5], v[30:31], s[12:13], -v[12:13]
	;; [unrolled: 1-line block ×3, first 2 shown]
	v_mul_f64_e32 v[79:80], s[36:37], v[121:122]
	v_fma_f64 v[2:3], v[149:150], s[14:15], -v[10:11]
	v_fma_f64 v[6:7], v[93:94], s[10:11], -v[14:15]
	v_fma_f64 v[10:11], v[81:82], s[2:3], -v[18:19]
	v_mul_f64_e32 v[81:82], s[28:29], v[121:122]
	v_fma_f64 v[18:19], v[119:120], s[6:7], -v[83:84]
	v_fma_f64 v[8:9], v[60:61], s[6:7], -v[16:17]
	v_mul_f64_e32 v[93:94], s[50:51], v[127:128]
	v_add_f64_e32 v[0:1], v[0:1], v[103:104]
	v_mul_f64_e32 v[104:105], s[26:27], v[46:47]
	v_fma_f64 v[14:15], v[119:120], s[16:17], -v[79:80]
	v_fma_f64 v[16:17], v[119:120], s[12:13], -v[81:82]
	v_add_f64_e32 v[18:19], v[18:19], v[97:98]
	v_mul_f64_e32 v[98:99], s[28:29], v[141:142]
	v_add_f64_e32 v[0:1], v[2:3], v[0:1]
	v_fma_f64 v[2:3], v[73:74], s[14:15], -v[85:86]
	v_add_f64_e32 v[14:15], v[14:15], v[101:102]
	v_mul_f64_e32 v[100:101], s[20:21], v[141:142]
	v_mul_f64_e32 v[102:103], s[40:41], v[141:142]
	v_add_f64_e32 v[16:17], v[16:17], v[95:96]
	v_add_f64_e32 v[0:1], v[4:5], v[0:1]
	v_fma_f64 v[4:5], v[139:140], s[12:13], -v[98:99]
	v_add_f64_e32 v[2:3], v[2:3], v[14:15]
	v_fma_f64 v[14:15], v[73:74], s[6:7], -v[87:88]
	s_delay_alu instid0(VALU_DEP_4) | instskip(SKIP_1) | instid1(VALU_DEP_4)
	v_add_f64_e32 v[0:1], v[6:7], v[0:1]
	v_fma_f64 v[6:7], v[44:45], s[10:11], -v[104:105]
	v_add_f64_e32 v[2:3], v[4:5], v[2:3]
	s_delay_alu instid0(VALU_DEP_4)
	v_add_f64_e32 v[14:15], v[14:15], v[16:17]
	v_fma_f64 v[16:17], v[73:74], s[0:1], -v[93:94]
	v_fma_f64 v[4:5], v[139:140], s[0:1], -v[100:101]
	v_add_f64_e32 v[0:1], v[8:9], v[0:1]
	v_fma_f64 v[8:9], v[48:49], s[6:7], -v[111:112]
	v_add_f64_e32 v[2:3], v[6:7], v[2:3]
	;; [unrolled: 2-line block ×3, first 2 shown]
	v_add_f64_e32 v[4:5], v[4:5], v[14:15]
	v_fma_f64 v[14:15], v[139:140], s[10:11], -v[102:103]
	v_add_f64_e32 v[0:1], v[10:11], v[0:1]
	v_add_f64_e32 v[2:3], v[8:9], v[2:3]
	v_fma_f64 v[8:9], v[48:49], s[10:11], -v[113:114]
	v_add_f64_e32 v[4:5], v[6:7], v[4:5]
	;; [unrolled: 3-line block ×3, first 2 shown]
	s_delay_alu instid0(VALU_DEP_4) | instskip(SKIP_1) | instid1(VALU_DEP_4)
	v_add_f64_e32 v[4:5], v[8:9], v[4:5]
	v_fma_f64 v[8:9], v[48:49], s[18:19], -v[115:116]
	v_add_f64_e32 v[6:7], v[6:7], v[14:15]
	ds_store_b64 v129, v[0:1] offset:128
	v_lshlrev_b32_e32 v0, 3, v72
	global_wb scope:SCOPE_SE
	s_wait_dscnt 0x0
	s_barrier_signal -1
	s_barrier_wait -1
	global_inv scope:SCOPE_SE
	v_add3_u32 v97, 0, v0, v201
	v_add_nc_u32_e32 v106, v202, v0
	v_add_f64_e32 v[6:7], v[8:9], v[6:7]
	v_fma_f64 v[8:9], v[52:53], s[2:3], -v[117:118]
	s_delay_alu instid0(VALU_DEP_4) | instskip(NEXT) | instid1(VALU_DEP_2)
	v_add_nc_u32_e32 v96, 0x400, v97
	v_add_f64_e32 v[2:3], v[8:9], v[2:3]
	v_fma_f64 v[8:9], v[52:53], s[14:15], -v[123:124]
	s_delay_alu instid0(VALU_DEP_1) | instskip(SKIP_1) | instid1(VALU_DEP_1)
	v_add_f64_e32 v[4:5], v[8:9], v[4:5]
	v_fma_f64 v[8:9], v[52:53], s[12:13], -v[125:126]
	v_add_f64_e32 v[6:7], v[8:9], v[6:7]
	v_fma_f64 v[8:9], v[75:76], s[0:1], -v[130:131]
	s_delay_alu instid0(VALU_DEP_1) | instskip(SKIP_1) | instid1(VALU_DEP_1)
	v_add_f64_e32 v[132:133], v[8:9], v[2:3]
	v_fma_f64 v[2:3], v[75:76], s[18:19], -v[134:135]
	v_add_f64_e32 v[136:137], v[2:3], v[4:5]
	v_fma_f64 v[2:3], v[75:76], s[2:3], -v[145:146]
	s_delay_alu instid0(VALU_DEP_1)
	v_add_f64_e32 v[147:148], v[2:3], v[6:7]
	ds_load_b64 v[60:61], v106
	ds_load_2addr_b64 v[4:7], v97 offset0:17 offset1:34
	ds_load_2addr_b64 v[12:15], v97 offset0:51 offset1:68
	ds_load_2addr_b64 v[20:23], v97 offset0:85 offset1:102
	ds_load_2addr_b64 v[28:31], v97 offset0:119 offset1:136
	ds_load_2addr_b64 v[24:27], v97 offset0:153 offset1:170
	ds_load_2addr_b64 v[16:19], v97 offset0:187 offset1:204
	ds_load_2addr_b64 v[8:11], v97 offset0:221 offset1:238
	ds_load_2addr_b64 v[0:3], v96 offset0:127 offset1:144
	global_wb scope:SCOPE_SE
	s_wait_dscnt 0x0
	s_barrier_signal -1
	s_barrier_wait -1
	global_inv scope:SCOPE_SE
	ds_store_2addr_b64 v129, v[143:144], v[132:133] offset1:1
	ds_store_2addr_b64 v129, v[136:137], v[147:148] offset0:2 offset1:3
	v_mul_f64_e32 v[132:133], s[20:21], v[121:122]
	s_delay_alu instid0(VALU_DEP_1) | instskip(NEXT) | instid1(VALU_DEP_1)
	v_fma_f64 v[136:137], v[119:120], s[0:1], -v[132:133]
	v_add_f64_e32 v[89:90], v[136:137], v[89:90]
	v_mul_f64_e32 v[136:137], s[42:43], v[121:122]
	s_delay_alu instid0(VALU_DEP_1) | instskip(NEXT) | instid1(VALU_DEP_1)
	v_fma_f64 v[143:144], v[119:120], s[2:3], -v[136:137]
	v_add_f64_e32 v[91:92], v[143:144], v[91:92]
	;; [unrolled: 4-line block ×21, first 2 shown]
	v_mul_f64_e32 v[183:184], s[34:35], v[46:47]
	v_mul_f64_e32 v[46:47], s[24:25], v[46:47]
	s_delay_alu instid0(VALU_DEP_2) | instskip(NEXT) | instid1(VALU_DEP_1)
	v_fma_f64 v[185:186], v[44:45], s[18:19], -v[183:184]
	v_add_f64_e32 v[66:67], v[185:186], v[66:67]
	v_mul_f64_e32 v[185:186], s[36:37], v[50:51]
	s_delay_alu instid0(VALU_DEP_1) | instskip(NEXT) | instid1(VALU_DEP_1)
	v_fma_f64 v[187:188], v[48:49], s[16:17], -v[185:186]
	v_add_f64_e32 v[64:65], v[187:188], v[64:65]
	v_mul_f64_e32 v[187:188], s[20:21], v[50:51]
	v_mul_f64_e32 v[50:51], s[38:39], v[50:51]
	s_delay_alu instid0(VALU_DEP_2) | instskip(NEXT) | instid1(VALU_DEP_1)
	v_fma_f64 v[189:190], v[48:49], s[0:1], -v[187:188]
	v_add_f64_e32 v[66:67], v[189:190], v[66:67]
	v_mul_f64_e32 v[189:190], s[20:21], v[54:55]
	s_delay_alu instid0(VALU_DEP_1) | instskip(NEXT) | instid1(VALU_DEP_1)
	v_fma_f64 v[191:192], v[52:53], s[0:1], -v[189:190]
	v_add_f64_e32 v[64:65], v[191:192], v[64:65]
	v_mul_f64_e32 v[191:192], s[46:47], v[54:55]
	s_delay_alu instid0(VALU_DEP_1) | instskip(NEXT) | instid1(VALU_DEP_1)
	;; [unrolled: 4-line block ×4, first 2 shown]
	v_fma_f64 v[197:198], v[75:76], s[10:11], -v[195:196]
	v_add_f64_e32 v[66:67], v[197:198], v[66:67]
	ds_store_2addr_b64 v129, v[89:90], v[91:92] offset0:4 offset1:5
	ds_store_2addr_b64 v129, v[64:65], v[66:67] offset0:6 offset1:7
	v_mul_f64_e32 v[64:65], s[44:45], v[121:122]
	s_delay_alu instid0(VALU_DEP_1) | instskip(SKIP_1) | instid1(VALU_DEP_2)
	v_fma_f64 v[66:67], v[119:120], s[18:19], -v[64:65]
	v_fma_f64 v[64:65], v[119:120], s[18:19], v[64:65]
	v_add_f64_e32 v[58:59], v[66:67], v[58:59]
	s_delay_alu instid0(VALU_DEP_2) | instskip(SKIP_1) | instid1(VALU_DEP_1)
	v_add_f64_e32 v[62:63], v[64:65], v[62:63]
	v_mul_f64_e32 v[64:65], s[22:23], v[127:128]
	v_fma_f64 v[66:67], v[73:74], s[2:3], -v[64:65]
	v_fma_f64 v[64:65], v[73:74], s[2:3], v[64:65]
	s_delay_alu instid0(VALU_DEP_2) | instskip(NEXT) | instid1(VALU_DEP_2)
	v_add_f64_e32 v[58:59], v[66:67], v[58:59]
	v_add_f64_e32 v[62:63], v[64:65], v[62:63]
	v_mul_f64_e32 v[64:65], s[46:47], v[141:142]
	s_delay_alu instid0(VALU_DEP_1) | instskip(SKIP_1) | instid1(VALU_DEP_2)
	v_fma_f64 v[66:67], v[139:140], s[16:17], -v[64:65]
	v_fma_f64 v[64:65], v[139:140], s[16:17], v[64:65]
	v_add_f64_e32 v[58:59], v[66:67], v[58:59]
	s_delay_alu instid0(VALU_DEP_2) | instskip(SKIP_2) | instid1(VALU_DEP_2)
	v_add_f64_e32 v[62:63], v[64:65], v[62:63]
	v_fma_f64 v[64:65], v[44:45], s[6:7], -v[46:47]
	v_fma_f64 v[46:47], v[44:45], s[6:7], v[46:47]
	v_add_f64_e32 v[58:59], v[64:65], v[58:59]
	s_delay_alu instid0(VALU_DEP_2) | instskip(SKIP_2) | instid1(VALU_DEP_2)
	v_add_f64_e32 v[46:47], v[46:47], v[62:63]
	v_fma_f64 v[62:63], v[48:49], s[14:15], -v[50:51]
	v_fma_f64 v[50:51], v[48:49], s[14:15], v[50:51]
	v_add_f64_e32 v[58:59], v[62:63], v[58:59]
	s_delay_alu instid0(VALU_DEP_2) | instskip(SKIP_1) | instid1(VALU_DEP_1)
	v_add_f64_e32 v[46:47], v[50:51], v[46:47]
	v_mul_f64_e32 v[50:51], s[26:27], v[54:55]
	v_fma_f64 v[54:55], v[52:53], s[10:11], -v[50:51]
	v_fma_f64 v[50:51], v[52:53], s[10:11], v[50:51]
	s_delay_alu instid0(VALU_DEP_2) | instskip(NEXT) | instid1(VALU_DEP_2)
	v_add_f64_e32 v[54:55], v[54:55], v[58:59]
	v_add_f64_e32 v[46:47], v[50:51], v[46:47]
	v_mul_f64_e32 v[50:51], s[52:53], v[77:78]
	s_delay_alu instid0(VALU_DEP_1) | instskip(SKIP_1) | instid1(VALU_DEP_2)
	v_fma_f64 v[58:59], v[75:76], s[12:13], -v[50:51]
	v_fma_f64 v[50:51], v[75:76], s[12:13], v[50:51]
	v_add_f64_e32 v[54:55], v[58:59], v[54:55]
	s_delay_alu instid0(VALU_DEP_2) | instskip(SKIP_1) | instid1(VALU_DEP_1)
	v_add_f64_e32 v[46:47], v[50:51], v[46:47]
	v_fma_f64 v[50:51], v[119:120], s[10:11], v[169:170]
	v_add_f64_e32 v[42:43], v[50:51], v[42:43]
	v_fma_f64 v[50:51], v[119:120], s[14:15], v[171:172]
	s_delay_alu instid0(VALU_DEP_1) | instskip(SKIP_1) | instid1(VALU_DEP_1)
	v_add_f64_e32 v[50:51], v[50:51], v[56:57]
	v_fma_f64 v[56:57], v[73:74], s[18:19], v[173:174]
	v_add_f64_e32 v[42:43], v[56:57], v[42:43]
	v_fma_f64 v[56:57], v[73:74], s[12:13], v[175:176]
	s_delay_alu instid0(VALU_DEP_1) | instskip(SKIP_1) | instid1(VALU_DEP_1)
	;; [unrolled: 5-line block ×6, first 2 shown]
	v_add_f64_e32 v[50:51], v[56:57], v[50:51]
	v_fma_f64 v[56:57], v[75:76], s[14:15], v[193:194]
	v_add_f64_e32 v[42:43], v[56:57], v[42:43]
	v_fma_f64 v[56:57], v[75:76], s[10:11], v[195:196]
	s_delay_alu instid0(VALU_DEP_1) | instskip(SKIP_3) | instid1(VALU_DEP_1)
	v_add_f64_e32 v[50:51], v[56:57], v[50:51]
	ds_store_2addr_b64 v129, v[54:55], v[46:47] offset0:8 offset1:9
	ds_store_2addr_b64 v129, v[50:51], v[42:43] offset0:10 offset1:11
	v_fma_f64 v[42:43], v[119:120], s[0:1], v[132:133]
	v_add_f64_e32 v[38:39], v[42:43], v[38:39]
	v_fma_f64 v[42:43], v[119:120], s[2:3], v[136:137]
	s_delay_alu instid0(VALU_DEP_1) | instskip(SKIP_1) | instid1(VALU_DEP_1)
	v_add_f64_e32 v[40:41], v[42:43], v[40:41]
	v_fma_f64 v[42:43], v[73:74], s[10:11], v[143:144]
	v_add_f64_e32 v[38:39], v[42:43], v[38:39]
	v_fma_f64 v[42:43], v[73:74], s[16:17], v[147:148]
	s_delay_alu instid0(VALU_DEP_1) | instskip(SKIP_1) | instid1(VALU_DEP_1)
	v_add_f64_e32 v[40:41], v[42:43], v[40:41]
	;; [unrolled: 5-line block ×13, first 2 shown]
	v_fma_f64 v[42:43], v[75:76], s[18:19], v[134:135]
	v_add_f64_e32 v[34:35], v[42:43], v[34:35]
	v_fma_f64 v[42:43], v[75:76], s[2:3], v[145:146]
	s_delay_alu instid0(VALU_DEP_1) | instskip(SKIP_4) | instid1(VALU_DEP_2)
	v_add_f64_e32 v[36:37], v[42:43], v[36:37]
	ds_store_2addr_b64 v129, v[40:41], v[38:39] offset0:12 offset1:13
	ds_store_2addr_b64 v129, v[36:37], v[34:35] offset0:14 offset1:15
	v_fma_f64 v[34:35], v[119:120], s[16:17], v[79:80]
	v_fma_f64 v[36:37], v[73:74], s[14:15], v[85:86]
	v_add_f64_e32 v[32:33], v[34:35], v[32:33]
	v_fma_f64 v[34:35], v[139:140], s[12:13], v[98:99]
	s_delay_alu instid0(VALU_DEP_2) | instskip(SKIP_1) | instid1(VALU_DEP_2)
	v_add_f64_e32 v[32:33], v[36:37], v[32:33]
	v_fma_f64 v[36:37], v[44:45], s[10:11], v[104:105]
	v_add_f64_e32 v[32:33], v[34:35], v[32:33]
	v_fma_f64 v[34:35], v[48:49], s[6:7], v[111:112]
	s_delay_alu instid0(VALU_DEP_2) | instskip(NEXT) | instid1(VALU_DEP_1)
	v_add_f64_e32 v[32:33], v[36:37], v[32:33]
	v_add_f64_e32 v[32:33], v[34:35], v[32:33]
	v_fma_f64 v[34:35], v[52:53], s[2:3], v[117:118]
	s_delay_alu instid0(VALU_DEP_1) | instskip(SKIP_1) | instid1(VALU_DEP_1)
	v_add_f64_e32 v[32:33], v[34:35], v[32:33]
	v_fma_f64 v[34:35], v[75:76], s[0:1], v[130:131]
	v_add_f64_e32 v[32:33], v[34:35], v[32:33]
	ds_store_b64 v129, v[32:33] offset:128
	global_wb scope:SCOPE_SE
	s_wait_dscnt 0x0
	s_barrier_signal -1
	s_barrier_wait -1
	global_inv scope:SCOPE_SE
	s_and_saveexec_b32 s33, vcc_lo
	s_cbranch_execz .LBB0_12
; %bb.11:
	v_dual_mov_b32 v33, 0 :: v_dual_lshlrev_b32 v32, 4, v72
	s_delay_alu instid0(VALU_DEP_1) | instskip(NEXT) | instid1(VALU_DEP_1)
	v_lshlrev_b64_e32 v[32:33], 4, v[32:33]
	v_add_co_u32 v44, vcc_lo, s4, v32
	s_wait_alu 0xfffd
	s_delay_alu instid0(VALU_DEP_2)
	v_add_co_ci_u32_e32 v45, vcc_lo, s5, v33, vcc_lo
	s_clause 0x1
	global_load_b128 v[32:35], v[44:45], off offset:112
	global_load_b128 v[36:39], v[44:45], off offset:96
	ds_load_2addr_b64 v[40:43], v97 offset0:119 offset1:136
	s_wait_loadcnt 0x1
	v_mul_f64_e32 v[46:47], v[30:31], v[32:33]
	v_mul_f64_e32 v[30:31], v[30:31], v[34:35]
	s_wait_dscnt 0x0
	s_delay_alu instid0(VALU_DEP_2) | instskip(NEXT) | instid1(VALU_DEP_2)
	v_fma_f64 v[74:75], v[42:43], v[34:35], v[46:47]
	v_fma_f64 v[76:77], v[42:43], v[32:33], -v[30:31]
	s_wait_loadcnt 0x0
	v_mul_f64_e32 v[30:31], v[28:29], v[36:37]
	v_mul_f64_e32 v[28:29], v[28:29], v[38:39]
	s_delay_alu instid0(VALU_DEP_2) | instskip(NEXT) | instid1(VALU_DEP_2)
	v_fma_f64 v[80:81], v[40:41], v[38:39], v[30:31]
	v_fma_f64 v[88:89], v[40:41], v[36:37], -v[28:29]
	s_clause 0x1
	global_load_b128 v[28:31], v[44:45], off offset:128
	global_load_b128 v[32:35], v[44:45], off offset:144
	ds_load_2addr_b64 v[36:39], v97 offset0:153 offset1:170
	s_wait_loadcnt 0x1
	v_mul_f64_e32 v[40:41], v[24:25], v[28:29]
	v_mul_f64_e32 v[24:25], v[24:25], v[30:31]
	s_wait_dscnt 0x0
	s_delay_alu instid0(VALU_DEP_2) | instskip(NEXT) | instid1(VALU_DEP_2)
	v_fma_f64 v[82:83], v[36:37], v[30:31], v[40:41]
	v_fma_f64 v[84:85], v[36:37], v[28:29], -v[24:25]
	s_wait_loadcnt 0x0
	v_mul_f64_e32 v[24:25], v[26:27], v[32:33]
	v_mul_f64_e32 v[26:27], v[26:27], v[34:35]
	s_delay_alu instid0(VALU_DEP_4) | instskip(NEXT) | instid1(VALU_DEP_4)
	v_add_f64_e64 v[180:181], v[74:75], -v[82:83]
	v_add_f64_e64 v[182:183], v[76:77], -v[84:85]
	s_delay_alu instid0(VALU_DEP_4) | instskip(NEXT) | instid1(VALU_DEP_4)
	v_fma_f64 v[64:65], v[38:39], v[34:35], v[24:25]
	v_fma_f64 v[86:87], v[38:39], v[32:33], -v[26:27]
	s_clause 0x1
	global_load_b128 v[24:27], v[44:45], off offset:80
	global_load_b128 v[28:31], v[44:45], off offset:64
	ds_load_2addr_b64 v[32:35], v97 offset0:85 offset1:102
	v_add_f64_e32 v[144:145], v[76:77], v[84:85]
	v_add_f64_e32 v[146:147], v[74:75], v[82:83]
	v_mul_f64_e32 v[42:43], s[26:27], v[180:181]
	v_mul_f64_e32 v[50:51], s[38:39], v[180:181]
	v_add_f64_e64 v[176:177], v[80:81], -v[64:65]
	v_add_f64_e32 v[140:141], v[88:89], v[86:87]
	v_add_f64_e64 v[178:179], v[88:89], -v[86:87]
	v_add_f64_e32 v[142:143], v[80:81], v[64:65]
	v_mul_f64_e32 v[52:53], s[38:39], v[182:183]
	v_mul_f64_e32 v[194:195], s[24:25], v[180:181]
	;; [unrolled: 1-line block ×9, first 2 shown]
	s_wait_loadcnt 0x1
	v_mul_f64_e32 v[36:37], v[22:23], v[24:25]
	v_mul_f64_e32 v[22:23], v[22:23], v[26:27]
	s_wait_dscnt 0x0
	s_delay_alu instid0(VALU_DEP_2) | instskip(NEXT) | instid1(VALU_DEP_2)
	v_fma_f64 v[92:93], v[34:35], v[26:27], v[36:37]
	v_fma_f64 v[94:95], v[34:35], v[24:25], -v[22:23]
	s_wait_loadcnt 0x0
	v_mul_f64_e32 v[22:23], v[20:21], v[28:29]
	v_mul_f64_e32 v[20:21], v[20:21], v[30:31]
	;; [unrolled: 1-line block ×4, first 2 shown]
	s_delay_alu instid0(VALU_DEP_4) | instskip(NEXT) | instid1(VALU_DEP_4)
	v_fma_f64 v[100:101], v[32:33], v[30:31], v[22:23]
	v_fma_f64 v[102:103], v[32:33], v[28:29], -v[20:21]
	s_clause 0x1
	global_load_b128 v[20:23], v[44:45], off offset:160
	global_load_b128 v[24:27], v[44:45], off offset:176
	ds_load_2addr_b64 v[28:31], v97 offset0:187 offset1:204
	s_wait_loadcnt 0x1
	v_mul_f64_e32 v[32:33], v[16:17], v[20:21]
	v_mul_f64_e32 v[16:17], v[16:17], v[22:23]
	s_wait_dscnt 0x0
	s_delay_alu instid0(VALU_DEP_2) | instskip(NEXT) | instid1(VALU_DEP_2)
	v_fma_f64 v[66:67], v[28:29], v[22:23], v[32:33]
	v_fma_f64 v[78:79], v[28:29], v[20:21], -v[16:17]
	s_wait_loadcnt 0x0
	v_mul_f64_e32 v[16:17], v[18:19], v[24:25]
	v_mul_f64_e32 v[18:19], v[18:19], v[26:27]
	s_delay_alu instid0(VALU_DEP_4) | instskip(NEXT) | instid1(VALU_DEP_4)
	v_add_f64_e64 v[172:173], v[92:93], -v[66:67]
	v_add_f64_e32 v[136:137], v[94:95], v[78:79]
	s_delay_alu instid0(VALU_DEP_4) | instskip(NEXT) | instid1(VALU_DEP_4)
	v_fma_f64 v[62:63], v[30:31], v[26:27], v[16:17]
	v_fma_f64 v[72:73], v[30:31], v[24:25], -v[18:19]
	s_clause 0x1
	global_load_b128 v[16:19], v[44:45], off offset:48
	global_load_b128 v[20:23], v[44:45], off offset:32
	ds_load_2addr_b64 v[24:27], v97 offset0:51 offset1:68
	v_add_f64_e64 v[174:175], v[94:95], -v[78:79]
	v_add_f64_e32 v[138:139], v[92:93], v[66:67]
	v_add_f64_e64 v[168:169], v[100:101], -v[62:63]
	v_add_f64_e32 v[132:133], v[102:103], v[72:73]
	;; [unrolled: 2-line block ×3, first 2 shown]
	s_wait_loadcnt 0x1
	v_mul_f64_e32 v[28:29], v[14:15], v[16:17]
	v_mul_f64_e32 v[14:15], v[14:15], v[18:19]
	s_wait_dscnt 0x0
	s_delay_alu instid0(VALU_DEP_2) | instskip(NEXT) | instid1(VALU_DEP_2)
	v_fma_f64 v[148:149], v[26:27], v[18:19], v[28:29]
	v_fma_f64 v[150:151], v[26:27], v[16:17], -v[14:15]
	s_wait_loadcnt 0x0
	v_mul_f64_e32 v[14:15], v[12:13], v[20:21]
	v_mul_f64_e32 v[12:13], v[12:13], v[22:23]
	s_delay_alu instid0(VALU_DEP_2) | instskip(NEXT) | instid1(VALU_DEP_2)
	v_fma_f64 v[152:153], v[24:25], v[22:23], v[14:15]
	v_fma_f64 v[154:155], v[24:25], v[20:21], -v[12:13]
	s_clause 0x1
	global_load_b128 v[12:15], v[44:45], off offset:192
	global_load_b128 v[16:19], v[44:45], off offset:208
	ds_load_2addr_b64 v[20:23], v97 offset0:221 offset1:238
	s_wait_loadcnt 0x1
	v_mul_f64_e32 v[24:25], v[8:9], v[12:13]
	v_mul_f64_e32 v[8:9], v[8:9], v[14:15]
	s_wait_dscnt 0x0
	s_delay_alu instid0(VALU_DEP_2) | instskip(NEXT) | instid1(VALU_DEP_2)
	v_fma_f64 v[98:99], v[20:21], v[14:15], v[24:25]
	v_fma_f64 v[114:115], v[20:21], v[12:13], -v[8:9]
	s_wait_loadcnt 0x0
	v_mul_f64_e32 v[8:9], v[10:11], v[16:17]
	v_mul_f64_e32 v[10:11], v[10:11], v[18:19]
	s_delay_alu instid0(VALU_DEP_4) | instskip(NEXT) | instid1(VALU_DEP_4)
	v_add_f64_e64 v[164:165], v[148:149], -v[98:99]
	v_add_f64_e32 v[128:129], v[150:151], v[114:115]
	s_delay_alu instid0(VALU_DEP_4) | instskip(NEXT) | instid1(VALU_DEP_4)
	v_fma_f64 v[90:91], v[22:23], v[18:19], v[8:9]
	v_fma_f64 v[104:105], v[22:23], v[16:17], -v[10:11]
	s_clause 0x1
	global_load_b128 v[8:11], v[44:45], off offset:16
	global_load_b128 v[12:15], v[44:45], off
	ds_load_2addr_b64 v[16:19], v97 offset0:17 offset1:34
	v_add_f64_e64 v[166:167], v[150:151], -v[114:115]
	v_add_f64_e32 v[130:131], v[148:149], v[98:99]
	v_add_f64_e64 v[56:57], v[152:153], -v[90:91]
	v_add_f64_e32 v[124:125], v[154:155], v[104:105]
	;; [unrolled: 2-line block ×3, first 2 shown]
	s_wait_loadcnt 0x1
	v_mul_f64_e32 v[20:21], v[6:7], v[8:9]
	v_mul_f64_e32 v[6:7], v[6:7], v[10:11]
	s_wait_dscnt 0x0
	s_delay_alu instid0(VALU_DEP_2) | instskip(NEXT) | instid1(VALU_DEP_2)
	v_fma_f64 v[156:157], v[18:19], v[10:11], v[20:21]
	v_fma_f64 v[158:159], v[18:19], v[8:9], -v[6:7]
	s_wait_loadcnt 0x0
	v_mul_f64_e32 v[6:7], v[4:5], v[12:13]
	v_mul_f64_e32 v[4:5], v[4:5], v[14:15]
	s_delay_alu instid0(VALU_DEP_2) | instskip(NEXT) | instid1(VALU_DEP_2)
	v_fma_f64 v[160:161], v[16:17], v[14:15], v[6:7]
	v_fma_f64 v[162:163], v[16:17], v[12:13], -v[4:5]
	s_clause 0x1
	global_load_b128 v[4:7], v[44:45], off offset:224
	global_load_b128 v[8:11], v[44:45], off offset:240
	ds_load_2addr_b64 v[12:15], v96 offset0:127 offset1:144
	ds_load_b64 v[106:107], v106
	v_mul_f64_e32 v[44:45], s[26:27], v[182:183]
	s_wait_loadcnt 0x1
	v_mul_f64_e32 v[16:17], v[0:1], v[4:5]
	v_mul_f64_e32 v[0:1], v[0:1], v[6:7]
	s_wait_dscnt 0x1
	s_delay_alu instid0(VALU_DEP_2) | instskip(NEXT) | instid1(VALU_DEP_2)
	v_fma_f64 v[110:111], v[12:13], v[6:7], v[16:17]
	v_fma_f64 v[118:119], v[12:13], v[4:5], -v[0:1]
	s_wait_loadcnt 0x0
	v_mul_f64_e32 v[0:1], v[2:3], v[8:9]
	v_mul_f64_e32 v[2:3], v[2:3], v[10:11]
	s_delay_alu instid0(VALU_DEP_4) | instskip(NEXT) | instid1(VALU_DEP_4)
	v_add_f64_e64 v[190:191], v[156:157], -v[110:111]
	v_add_f64_e32 v[112:113], v[158:159], v[118:119]
	s_delay_alu instid0(VALU_DEP_4) | instskip(NEXT) | instid1(VALU_DEP_4)
	v_fma_f64 v[96:97], v[14:15], v[10:11], v[0:1]
	v_fma_f64 v[116:117], v[14:15], v[8:9], -v[2:3]
	v_add_f64_e64 v[186:187], v[158:159], -v[118:119]
	v_add_f64_e32 v[122:123], v[156:157], v[110:111]
	v_mul_f64_e32 v[6:7], s[44:45], v[190:191]
	v_add_f64_e64 v[188:189], v[160:161], -v[96:97]
	v_add_f64_e32 v[108:109], v[162:163], v[116:117]
	v_add_f64_e64 v[184:185], v[162:163], -v[116:117]
	v_add_f64_e32 v[120:121], v[160:161], v[96:97]
	v_mul_f64_e32 v[10:11], s[44:45], v[186:187]
	s_wait_dscnt 0x0
	v_add_f64_e32 v[162:163], v[106:107], v[162:163]
	v_add_f64_e32 v[160:161], v[60:61], v[160:161]
	v_fma_f64 v[2:3], v[112:113], s[18:19], v[6:7]
	v_fma_f64 v[6:7], v[112:113], s[18:19], -v[6:7]
	v_mul_f64_e32 v[4:5], s[20:21], v[188:189]
	v_mul_f64_e32 v[8:9], s[20:21], v[184:185]
	v_fma_f64 v[12:13], v[122:123], s[18:19], -v[10:11]
	v_add_f64_e32 v[158:159], v[158:159], v[162:163]
	v_add_f64_e32 v[156:157], v[156:157], v[160:161]
	v_fma_f64 v[0:1], v[108:109], s[0:1], v[4:5]
	v_fma_f64 v[4:5], v[108:109], s[0:1], -v[4:5]
	s_delay_alu instid0(VALU_DEP_4) | instskip(NEXT) | instid1(VALU_DEP_4)
	v_add_f64_e32 v[154:155], v[154:155], v[158:159]
	v_add_f64_e32 v[152:153], v[152:153], v[156:157]
	s_delay_alu instid0(VALU_DEP_4) | instskip(NEXT) | instid1(VALU_DEP_4)
	v_add_f64_e32 v[0:1], v[106:107], v[0:1]
	v_add_f64_e32 v[4:5], v[106:107], v[4:5]
	;; [unrolled: 3-line block ×3, first 2 shown]
	s_delay_alu instid0(VALU_DEP_4)
	v_add_f64_e32 v[0:1], v[2:3], v[0:1]
	v_fma_f64 v[2:3], v[120:121], s[0:1], -v[8:9]
	v_add_f64_e32 v[4:5], v[6:7], v[4:5]
	v_fma_f64 v[6:7], v[120:121], s[0:1], v[8:9]
	v_fma_f64 v[8:9], v[122:123], s[18:19], v[10:11]
	;; [unrolled: 1-line block ×3, first 2 shown]
	v_add_f64_e32 v[102:103], v[102:103], v[150:151]
	v_add_f64_e32 v[100:101], v[100:101], v[148:149]
	;; [unrolled: 1-line block ×4, first 2 shown]
	s_delay_alu instid0(VALU_DEP_4) | instskip(NEXT) | instid1(VALU_DEP_4)
	v_add_f64_e32 v[94:95], v[94:95], v[102:103]
	v_add_f64_e32 v[92:93], v[92:93], v[100:101]
	s_delay_alu instid0(VALU_DEP_4) | instskip(SKIP_4) | instid1(VALU_DEP_4)
	v_add_f64_e32 v[2:3], v[12:13], v[2:3]
	v_mul_f64_e32 v[12:13], s[22:23], v[56:57]
	v_add_f64_e32 v[6:7], v[8:9], v[6:7]
	v_add_f64_e32 v[88:89], v[88:89], v[94:95]
	;; [unrolled: 1-line block ×3, first 2 shown]
	v_fma_f64 v[14:15], v[124:125], s[2:3], v[12:13]
	v_fma_f64 v[8:9], v[124:125], s[2:3], -v[12:13]
	v_mul_f64_e32 v[12:13], s[22:23], v[188:189]
	v_add_f64_e32 v[76:77], v[76:77], v[88:89]
	v_add_f64_e32 v[74:75], v[74:75], v[80:81]
	;; [unrolled: 1-line block ×3, first 2 shown]
	v_mul_f64_e32 v[14:15], s[22:23], v[58:59]
	v_add_f64_e32 v[4:5], v[8:9], v[4:5]
	v_add_f64_e32 v[76:77], v[84:85], v[76:77]
	;; [unrolled: 1-line block ×3, first 2 shown]
	s_delay_alu instid0(VALU_DEP_4)
	v_fma_f64 v[16:17], v[126:127], s[2:3], -v[14:15]
	v_fma_f64 v[8:9], v[126:127], s[2:3], v[14:15]
	v_mul_f64_e32 v[14:15], s[38:39], v[190:191]
	v_add_f64_e32 v[76:77], v[86:87], v[76:77]
	v_add_f64_e32 v[64:65], v[64:65], v[74:75]
	;; [unrolled: 1-line block ×3, first 2 shown]
	v_mul_f64_e32 v[16:17], s[46:47], v[164:165]
	v_add_f64_e32 v[6:7], v[8:9], v[6:7]
	v_add_f64_e32 v[74:75], v[78:79], v[76:77]
	;; [unrolled: 1-line block ×3, first 2 shown]
	s_delay_alu instid0(VALU_DEP_4)
	v_fma_f64 v[18:19], v[128:129], s[16:17], v[16:17]
	v_fma_f64 v[8:9], v[128:129], s[16:17], -v[16:17]
	v_mul_f64_e32 v[16:17], s[22:23], v[184:185]
	v_add_f64_e32 v[66:67], v[72:73], v[74:75]
	v_add_f64_e32 v[62:63], v[62:63], v[64:65]
	v_add_f64_e32 v[0:1], v[18:19], v[0:1]
	v_mul_f64_e32 v[18:19], s[46:47], v[166:167]
	v_add_f64_e32 v[4:5], v[8:9], v[4:5]
	v_add_f64_e32 v[64:65], v[114:115], v[66:67]
	;; [unrolled: 1-line block ×3, first 2 shown]
	s_delay_alu instid0(VALU_DEP_4)
	v_fma_f64 v[20:21], v[130:131], s[16:17], -v[18:19]
	v_fma_f64 v[8:9], v[130:131], s[16:17], v[18:19]
	v_mul_f64_e32 v[18:19], s[38:39], v[186:187]
	v_add_f64_e32 v[64:65], v[104:105], v[64:65]
	v_add_f64_e32 v[62:63], v[90:91], v[62:63]
	;; [unrolled: 1-line block ×3, first 2 shown]
	v_mul_f64_e32 v[20:21], s[24:25], v[168:169]
	v_add_f64_e32 v[6:7], v[8:9], v[6:7]
	v_add_f64_e32 v[64:65], v[118:119], v[64:65]
	;; [unrolled: 1-line block ×3, first 2 shown]
	s_delay_alu instid0(VALU_DEP_4)
	v_fma_f64 v[22:23], v[132:133], s[6:7], v[20:21]
	v_fma_f64 v[8:9], v[132:133], s[6:7], -v[20:21]
	v_fma_f64 v[20:21], v[122:123], s[14:15], -v[18:19]
	v_add_f64_e32 v[64:65], v[116:117], v[64:65]
	v_add_f64_e32 v[62:63], v[96:97], v[62:63]
	;; [unrolled: 1-line block ×3, first 2 shown]
	v_mul_f64_e32 v[22:23], s[24:25], v[170:171]
	v_add_f64_e32 v[4:5], v[8:9], v[4:5]
	s_delay_alu instid0(VALU_DEP_2) | instskip(SKIP_1) | instid1(VALU_DEP_2)
	v_fma_f64 v[24:25], v[134:135], s[6:7], -v[22:23]
	v_fma_f64 v[8:9], v[134:135], s[6:7], v[22:23]
	v_add_f64_e32 v[2:3], v[24:25], v[2:3]
	v_mul_f64_e32 v[24:25], s[38:39], v[172:173]
	s_delay_alu instid0(VALU_DEP_3) | instskip(NEXT) | instid1(VALU_DEP_2)
	v_add_f64_e32 v[6:7], v[8:9], v[6:7]
	v_fma_f64 v[26:27], v[136:137], s[14:15], v[24:25]
	v_fma_f64 v[8:9], v[136:137], s[14:15], -v[24:25]
	s_delay_alu instid0(VALU_DEP_2) | instskip(SKIP_1) | instid1(VALU_DEP_3)
	v_add_f64_e32 v[0:1], v[26:27], v[0:1]
	v_mul_f64_e32 v[26:27], s[38:39], v[174:175]
	v_add_f64_e32 v[4:5], v[8:9], v[4:5]
	s_delay_alu instid0(VALU_DEP_2) | instskip(SKIP_1) | instid1(VALU_DEP_2)
	v_fma_f64 v[28:29], v[138:139], s[14:15], -v[26:27]
	v_fma_f64 v[8:9], v[138:139], s[14:15], v[26:27]
	v_add_f64_e32 v[2:3], v[28:29], v[2:3]
	v_mul_f64_e32 v[28:29], s[26:27], v[176:177]
	s_delay_alu instid0(VALU_DEP_3) | instskip(NEXT) | instid1(VALU_DEP_2)
	v_add_f64_e32 v[6:7], v[8:9], v[6:7]
	v_fma_f64 v[30:31], v[140:141], s[10:11], v[28:29]
	v_fma_f64 v[8:9], v[140:141], s[10:11], -v[28:29]
	s_delay_alu instid0(VALU_DEP_2) | instskip(SKIP_1) | instid1(VALU_DEP_3)
	v_add_f64_e32 v[0:1], v[30:31], v[0:1]
	v_mul_f64_e32 v[30:31], s[26:27], v[178:179]
	v_add_f64_e32 v[4:5], v[8:9], v[4:5]
	s_delay_alu instid0(VALU_DEP_2) | instskip(SKIP_1) | instid1(VALU_DEP_2)
	v_fma_f64 v[8:9], v[142:143], s[10:11], v[30:31]
	v_fma_f64 v[32:33], v[142:143], s[10:11], -v[30:31]
	v_add_f64_e32 v[8:9], v[8:9], v[6:7]
	v_fma_f64 v[6:7], v[144:145], s[12:13], -v[34:35]
	s_delay_alu instid0(VALU_DEP_3) | instskip(SKIP_1) | instid1(VALU_DEP_3)
	v_add_f64_e32 v[32:33], v[32:33], v[2:3]
	v_fma_f64 v[2:3], v[144:145], s[12:13], v[34:35]
	v_add_f64_e32 v[6:7], v[6:7], v[4:5]
	v_add_f64_e32 v[4:5], v[10:11], v[8:9]
	v_fma_f64 v[8:9], v[108:109], s[2:3], v[12:13]
	v_fma_f64 v[10:11], v[112:113], s[14:15], v[14:15]
	v_fma_f64 v[12:13], v[108:109], s[2:3], -v[12:13]
	v_fma_f64 v[14:15], v[112:113], s[14:15], -v[14:15]
	v_add_f64_e32 v[2:3], v[2:3], v[0:1]
	v_fma_f64 v[0:1], v[146:147], s[12:13], -v[36:37]
	v_add_f64_e32 v[8:9], v[106:107], v[8:9]
	v_add_f64_e32 v[12:13], v[106:107], v[12:13]
	s_delay_alu instid0(VALU_DEP_3) | instskip(NEXT) | instid1(VALU_DEP_3)
	v_add_f64_e32 v[0:1], v[0:1], v[32:33]
	v_add_f64_e32 v[8:9], v[10:11], v[8:9]
	v_fma_f64 v[10:11], v[120:121], s[2:3], -v[16:17]
	s_delay_alu instid0(VALU_DEP_4) | instskip(SKIP_4) | instid1(VALU_DEP_4)
	v_add_f64_e32 v[12:13], v[14:15], v[12:13]
	v_fma_f64 v[14:15], v[120:121], s[2:3], v[16:17]
	v_fma_f64 v[16:17], v[122:123], s[14:15], v[18:19]
	;; [unrolled: 1-line block ×3, first 2 shown]
	v_add_f64_e32 v[10:11], v[60:61], v[10:11]
	v_add_f64_e32 v[14:15], v[60:61], v[14:15]
	s_delay_alu instid0(VALU_DEP_2) | instskip(SKIP_1) | instid1(VALU_DEP_3)
	v_add_f64_e32 v[10:11], v[20:21], v[10:11]
	v_mul_f64_e32 v[20:21], s[28:29], v[56:57]
	v_add_f64_e32 v[14:15], v[16:17], v[14:15]
	s_delay_alu instid0(VALU_DEP_2) | instskip(SKIP_2) | instid1(VALU_DEP_3)
	v_fma_f64 v[22:23], v[124:125], s[12:13], v[20:21]
	v_fma_f64 v[16:17], v[124:125], s[12:13], -v[20:21]
	v_mul_f64_e32 v[20:21], s[24:25], v[188:189]
	v_add_f64_e32 v[8:9], v[22:23], v[8:9]
	v_mul_f64_e32 v[22:23], s[28:29], v[58:59]
	s_delay_alu instid0(VALU_DEP_4) | instskip(NEXT) | instid1(VALU_DEP_2)
	v_add_f64_e32 v[12:13], v[16:17], v[12:13]
	v_fma_f64 v[24:25], v[126:127], s[12:13], -v[22:23]
	v_fma_f64 v[16:17], v[126:127], s[12:13], v[22:23]
	v_mul_f64_e32 v[22:23], s[40:41], v[190:191]
	s_delay_alu instid0(VALU_DEP_3) | instskip(SKIP_1) | instid1(VALU_DEP_4)
	v_add_f64_e32 v[10:11], v[24:25], v[10:11]
	v_mul_f64_e32 v[24:25], s[48:49], v[164:165]
	v_add_f64_e32 v[14:15], v[16:17], v[14:15]
	s_delay_alu instid0(VALU_DEP_2) | instskip(SKIP_2) | instid1(VALU_DEP_3)
	v_fma_f64 v[26:27], v[128:129], s[6:7], v[24:25]
	v_fma_f64 v[16:17], v[128:129], s[6:7], -v[24:25]
	v_mul_f64_e32 v[24:25], s[24:25], v[184:185]
	v_add_f64_e32 v[8:9], v[26:27], v[8:9]
	v_mul_f64_e32 v[26:27], s[48:49], v[166:167]
	s_delay_alu instid0(VALU_DEP_4) | instskip(NEXT) | instid1(VALU_DEP_2)
	v_add_f64_e32 v[12:13], v[16:17], v[12:13]
	v_fma_f64 v[28:29], v[130:131], s[6:7], -v[26:27]
	v_fma_f64 v[16:17], v[130:131], s[6:7], v[26:27]
	v_mul_f64_e32 v[26:27], s[40:41], v[186:187]
	s_delay_alu instid0(VALU_DEP_3) | instskip(SKIP_1) | instid1(VALU_DEP_4)
	v_add_f64_e32 v[10:11], v[28:29], v[10:11]
	v_mul_f64_e32 v[28:29], s[34:35], v[168:169]
	v_add_f64_e32 v[14:15], v[16:17], v[14:15]
	s_delay_alu instid0(VALU_DEP_2) | instskip(SKIP_2) | instid1(VALU_DEP_3)
	v_fma_f64 v[30:31], v[132:133], s[18:19], v[28:29]
	v_fma_f64 v[16:17], v[132:133], s[18:19], -v[28:29]
	v_fma_f64 v[28:29], v[122:123], s[10:11], -v[26:27]
	v_add_f64_e32 v[8:9], v[30:31], v[8:9]
	v_mul_f64_e32 v[30:31], s[34:35], v[170:171]
	s_delay_alu instid0(VALU_DEP_4) | instskip(NEXT) | instid1(VALU_DEP_2)
	v_add_f64_e32 v[12:13], v[16:17], v[12:13]
	v_fma_f64 v[32:33], v[134:135], s[18:19], -v[30:31]
	v_fma_f64 v[16:17], v[134:135], s[18:19], v[30:31]
	s_delay_alu instid0(VALU_DEP_2) | instskip(SKIP_1) | instid1(VALU_DEP_3)
	v_add_f64_e32 v[10:11], v[32:33], v[10:11]
	v_mul_f64_e32 v[32:33], s[20:21], v[172:173]
	v_add_f64_e32 v[14:15], v[16:17], v[14:15]
	s_delay_alu instid0(VALU_DEP_2) | instskip(SKIP_1) | instid1(VALU_DEP_2)
	v_fma_f64 v[34:35], v[136:137], s[0:1], v[32:33]
	v_fma_f64 v[16:17], v[136:137], s[0:1], -v[32:33]
	v_add_f64_e32 v[8:9], v[34:35], v[8:9]
	v_mul_f64_e32 v[34:35], s[20:21], v[174:175]
	s_delay_alu instid0(VALU_DEP_3) | instskip(NEXT) | instid1(VALU_DEP_2)
	v_add_f64_e32 v[12:13], v[16:17], v[12:13]
	v_fma_f64 v[36:37], v[138:139], s[0:1], -v[34:35]
	v_fma_f64 v[16:17], v[138:139], s[0:1], v[34:35]
	s_delay_alu instid0(VALU_DEP_2) | instskip(SKIP_1) | instid1(VALU_DEP_3)
	v_add_f64_e32 v[10:11], v[36:37], v[10:11]
	v_mul_f64_e32 v[36:37], s[46:47], v[176:177]
	v_add_f64_e32 v[14:15], v[16:17], v[14:15]
	s_delay_alu instid0(VALU_DEP_2) | instskip(SKIP_1) | instid1(VALU_DEP_2)
	v_fma_f64 v[38:39], v[140:141], s[16:17], v[36:37]
	v_fma_f64 v[16:17], v[140:141], s[16:17], -v[36:37]
	v_add_f64_e32 v[8:9], v[38:39], v[8:9]
	v_mul_f64_e32 v[38:39], s[46:47], v[178:179]
	s_delay_alu instid0(VALU_DEP_3) | instskip(NEXT) | instid1(VALU_DEP_2)
	v_add_f64_e32 v[12:13], v[16:17], v[12:13]
	v_fma_f64 v[16:17], v[142:143], s[16:17], v[38:39]
	v_fma_f64 v[40:41], v[142:143], s[16:17], -v[38:39]
	s_delay_alu instid0(VALU_DEP_2) | instskip(SKIP_1) | instid1(VALU_DEP_3)
	v_add_f64_e32 v[16:17], v[16:17], v[14:15]
	v_fma_f64 v[14:15], v[144:145], s[10:11], -v[42:43]
	v_add_f64_e32 v[40:41], v[40:41], v[10:11]
	v_fma_f64 v[10:11], v[144:145], s[10:11], v[42:43]
	s_delay_alu instid0(VALU_DEP_3)
	v_add_f64_e32 v[14:15], v[14:15], v[12:13]
	v_add_f64_e32 v[12:13], v[18:19], v[16:17]
	v_fma_f64 v[16:17], v[108:109], s[6:7], v[20:21]
	v_fma_f64 v[18:19], v[112:113], s[10:11], v[22:23]
	v_fma_f64 v[20:21], v[108:109], s[6:7], -v[20:21]
	v_fma_f64 v[22:23], v[112:113], s[10:11], -v[22:23]
	v_add_f64_e32 v[10:11], v[10:11], v[8:9]
	v_fma_f64 v[8:9], v[146:147], s[10:11], -v[44:45]
	v_add_f64_e32 v[16:17], v[106:107], v[16:17]
	v_add_f64_e32 v[20:21], v[106:107], v[20:21]
	s_delay_alu instid0(VALU_DEP_3) | instskip(NEXT) | instid1(VALU_DEP_3)
	v_add_f64_e32 v[8:9], v[8:9], v[40:41]
	v_add_f64_e32 v[16:17], v[18:19], v[16:17]
	v_fma_f64 v[18:19], v[120:121], s[6:7], -v[24:25]
	s_delay_alu instid0(VALU_DEP_4) | instskip(SKIP_4) | instid1(VALU_DEP_4)
	v_add_f64_e32 v[20:21], v[22:23], v[20:21]
	v_fma_f64 v[22:23], v[120:121], s[6:7], v[24:25]
	v_fma_f64 v[24:25], v[122:123], s[10:11], v[26:27]
	;; [unrolled: 1-line block ×3, first 2 shown]
	v_add_f64_e32 v[18:19], v[60:61], v[18:19]
	v_add_f64_e32 v[22:23], v[60:61], v[22:23]
	s_delay_alu instid0(VALU_DEP_2) | instskip(SKIP_1) | instid1(VALU_DEP_3)
	v_add_f64_e32 v[18:19], v[28:29], v[18:19]
	v_mul_f64_e32 v[28:29], s[34:35], v[56:57]
	v_add_f64_e32 v[22:23], v[24:25], v[22:23]
	s_delay_alu instid0(VALU_DEP_2) | instskip(SKIP_2) | instid1(VALU_DEP_3)
	v_fma_f64 v[30:31], v[124:125], s[18:19], v[28:29]
	v_fma_f64 v[24:25], v[124:125], s[18:19], -v[28:29]
	v_mul_f64_e32 v[28:29], s[26:27], v[188:189]
	v_add_f64_e32 v[16:17], v[30:31], v[16:17]
	v_mul_f64_e32 v[30:31], s[34:35], v[58:59]
	s_delay_alu instid0(VALU_DEP_4) | instskip(NEXT) | instid1(VALU_DEP_2)
	v_add_f64_e32 v[20:21], v[24:25], v[20:21]
	v_fma_f64 v[32:33], v[126:127], s[18:19], -v[30:31]
	v_fma_f64 v[24:25], v[126:127], s[18:19], v[30:31]
	v_mul_f64_e32 v[30:31], s[42:43], v[190:191]
	s_delay_alu instid0(VALU_DEP_3) | instskip(SKIP_1) | instid1(VALU_DEP_4)
	v_add_f64_e32 v[18:19], v[32:33], v[18:19]
	v_mul_f64_e32 v[32:33], s[22:23], v[164:165]
	v_add_f64_e32 v[22:23], v[24:25], v[22:23]
	s_delay_alu instid0(VALU_DEP_2) | instskip(SKIP_2) | instid1(VALU_DEP_3)
	v_fma_f64 v[34:35], v[128:129], s[2:3], v[32:33]
	v_fma_f64 v[24:25], v[128:129], s[2:3], -v[32:33]
	v_mul_f64_e32 v[32:33], s[26:27], v[184:185]
	v_add_f64_e32 v[16:17], v[34:35], v[16:17]
	v_mul_f64_e32 v[34:35], s[22:23], v[166:167]
	s_delay_alu instid0(VALU_DEP_4) | instskip(NEXT) | instid1(VALU_DEP_2)
	v_add_f64_e32 v[20:21], v[24:25], v[20:21]
	v_fma_f64 v[36:37], v[130:131], s[2:3], -v[34:35]
	v_fma_f64 v[24:25], v[130:131], s[2:3], v[34:35]
	v_mul_f64_e32 v[34:35], s[42:43], v[186:187]
	s_delay_alu instid0(VALU_DEP_3) | instskip(SKIP_1) | instid1(VALU_DEP_4)
	v_add_f64_e32 v[18:19], v[36:37], v[18:19]
	v_mul_f64_e32 v[36:37], s[52:53], v[168:169]
	v_add_f64_e32 v[22:23], v[24:25], v[22:23]
	s_delay_alu instid0(VALU_DEP_2) | instskip(SKIP_2) | instid1(VALU_DEP_3)
	v_fma_f64 v[38:39], v[132:133], s[12:13], v[36:37]
	v_fma_f64 v[24:25], v[132:133], s[12:13], -v[36:37]
	v_fma_f64 v[36:37], v[122:123], s[2:3], -v[34:35]
	v_add_f64_e32 v[16:17], v[38:39], v[16:17]
	v_mul_f64_e32 v[38:39], s[52:53], v[170:171]
	s_delay_alu instid0(VALU_DEP_4) | instskip(NEXT) | instid1(VALU_DEP_2)
	v_add_f64_e32 v[20:21], v[24:25], v[20:21]
	v_fma_f64 v[40:41], v[134:135], s[12:13], -v[38:39]
	v_fma_f64 v[24:25], v[134:135], s[12:13], v[38:39]
	s_delay_alu instid0(VALU_DEP_2) | instskip(SKIP_1) | instid1(VALU_DEP_3)
	v_add_f64_e32 v[18:19], v[40:41], v[18:19]
	v_mul_f64_e32 v[40:41], s[36:37], v[172:173]
	v_add_f64_e32 v[22:23], v[24:25], v[22:23]
	s_delay_alu instid0(VALU_DEP_2) | instskip(SKIP_1) | instid1(VALU_DEP_2)
	v_fma_f64 v[42:43], v[136:137], s[16:17], v[40:41]
	v_fma_f64 v[24:25], v[136:137], s[16:17], -v[40:41]
	v_add_f64_e32 v[16:17], v[42:43], v[16:17]
	v_mul_f64_e32 v[42:43], s[36:37], v[174:175]
	s_delay_alu instid0(VALU_DEP_3) | instskip(NEXT) | instid1(VALU_DEP_2)
	v_add_f64_e32 v[20:21], v[24:25], v[20:21]
	v_fma_f64 v[44:45], v[138:139], s[16:17], -v[42:43]
	v_fma_f64 v[24:25], v[138:139], s[16:17], v[42:43]
	s_delay_alu instid0(VALU_DEP_2) | instskip(SKIP_1) | instid1(VALU_DEP_3)
	v_add_f64_e32 v[18:19], v[44:45], v[18:19]
	v_mul_f64_e32 v[44:45], s[20:21], v[176:177]
	v_add_f64_e32 v[22:23], v[24:25], v[22:23]
	s_delay_alu instid0(VALU_DEP_2) | instskip(SKIP_1) | instid1(VALU_DEP_2)
	v_fma_f64 v[46:47], v[140:141], s[0:1], v[44:45]
	v_fma_f64 v[24:25], v[140:141], s[0:1], -v[44:45]
	v_add_f64_e32 v[16:17], v[46:47], v[16:17]
	v_mul_f64_e32 v[46:47], s[20:21], v[178:179]
	s_delay_alu instid0(VALU_DEP_3) | instskip(NEXT) | instid1(VALU_DEP_2)
	v_add_f64_e32 v[20:21], v[24:25], v[20:21]
	v_fma_f64 v[24:25], v[142:143], s[0:1], v[46:47]
	v_fma_f64 v[48:49], v[142:143], s[0:1], -v[46:47]
	s_delay_alu instid0(VALU_DEP_2) | instskip(SKIP_1) | instid1(VALU_DEP_3)
	v_add_f64_e32 v[24:25], v[24:25], v[22:23]
	v_fma_f64 v[22:23], v[144:145], s[14:15], -v[50:51]
	v_add_f64_e32 v[48:49], v[48:49], v[18:19]
	v_fma_f64 v[18:19], v[144:145], s[14:15], v[50:51]
	s_delay_alu instid0(VALU_DEP_3)
	v_add_f64_e32 v[22:23], v[22:23], v[20:21]
	v_add_f64_e32 v[20:21], v[26:27], v[24:25]
	v_fma_f64 v[24:25], v[108:109], s[10:11], v[28:29]
	v_fma_f64 v[26:27], v[112:113], s[2:3], v[30:31]
	v_fma_f64 v[28:29], v[108:109], s[10:11], -v[28:29]
	v_fma_f64 v[30:31], v[112:113], s[2:3], -v[30:31]
	v_add_f64_e32 v[18:19], v[18:19], v[16:17]
	v_fma_f64 v[16:17], v[146:147], s[14:15], -v[52:53]
	v_add_f64_e32 v[24:25], v[106:107], v[24:25]
	v_add_f64_e32 v[28:29], v[106:107], v[28:29]
	s_delay_alu instid0(VALU_DEP_3) | instskip(NEXT) | instid1(VALU_DEP_3)
	v_add_f64_e32 v[16:17], v[16:17], v[48:49]
	v_add_f64_e32 v[24:25], v[26:27], v[24:25]
	v_fma_f64 v[26:27], v[120:121], s[10:11], -v[32:33]
	s_delay_alu instid0(VALU_DEP_4) | instskip(SKIP_4) | instid1(VALU_DEP_4)
	v_add_f64_e32 v[28:29], v[30:31], v[28:29]
	v_fma_f64 v[30:31], v[120:121], s[10:11], v[32:33]
	v_fma_f64 v[32:33], v[122:123], s[2:3], v[34:35]
	;; [unrolled: 1-line block ×3, first 2 shown]
	v_add_f64_e32 v[26:27], v[60:61], v[26:27]
	v_add_f64_e32 v[30:31], v[60:61], v[30:31]
	s_delay_alu instid0(VALU_DEP_2) | instskip(SKIP_1) | instid1(VALU_DEP_3)
	v_add_f64_e32 v[26:27], v[36:37], v[26:27]
	v_mul_f64_e32 v[36:37], s[46:47], v[56:57]
	v_add_f64_e32 v[30:31], v[32:33], v[30:31]
	s_delay_alu instid0(VALU_DEP_2) | instskip(SKIP_2) | instid1(VALU_DEP_3)
	v_fma_f64 v[38:39], v[124:125], s[16:17], v[36:37]
	v_fma_f64 v[32:33], v[124:125], s[16:17], -v[36:37]
	v_mul_f64_e32 v[36:37], s[28:29], v[188:189]
	v_add_f64_e32 v[24:25], v[38:39], v[24:25]
	v_mul_f64_e32 v[38:39], s[46:47], v[58:59]
	s_delay_alu instid0(VALU_DEP_4) | instskip(NEXT) | instid1(VALU_DEP_2)
	v_add_f64_e32 v[28:29], v[32:33], v[28:29]
	v_fma_f64 v[40:41], v[126:127], s[16:17], -v[38:39]
	v_fma_f64 v[32:33], v[126:127], s[16:17], v[38:39]
	v_mul_f64_e32 v[38:39], s[20:21], v[190:191]
	s_delay_alu instid0(VALU_DEP_3) | instskip(SKIP_1) | instid1(VALU_DEP_4)
	v_add_f64_e32 v[26:27], v[40:41], v[26:27]
	v_mul_f64_e32 v[40:41], s[30:31], v[164:165]
	v_add_f64_e32 v[30:31], v[32:33], v[30:31]
	s_delay_alu instid0(VALU_DEP_2) | instskip(SKIP_2) | instid1(VALU_DEP_3)
	v_fma_f64 v[42:43], v[128:129], s[14:15], v[40:41]
	v_fma_f64 v[32:33], v[128:129], s[14:15], -v[40:41]
	v_mul_f64_e32 v[40:41], s[28:29], v[184:185]
	v_add_f64_e32 v[24:25], v[42:43], v[24:25]
	v_mul_f64_e32 v[42:43], s[30:31], v[166:167]
	s_delay_alu instid0(VALU_DEP_4) | instskip(NEXT) | instid1(VALU_DEP_2)
	v_add_f64_e32 v[28:29], v[32:33], v[28:29]
	v_fma_f64 v[44:45], v[130:131], s[14:15], -v[42:43]
	v_fma_f64 v[32:33], v[130:131], s[14:15], v[42:43]
	v_mul_f64_e32 v[42:43], s[20:21], v[186:187]
	s_delay_alu instid0(VALU_DEP_3) | instskip(SKIP_1) | instid1(VALU_DEP_4)
	v_add_f64_e32 v[26:27], v[44:45], v[26:27]
	v_mul_f64_e32 v[44:45], s[20:21], v[168:169]
	v_add_f64_e32 v[30:31], v[32:33], v[30:31]
	s_delay_alu instid0(VALU_DEP_2) | instskip(SKIP_2) | instid1(VALU_DEP_3)
	v_fma_f64 v[46:47], v[132:133], s[0:1], v[44:45]
	v_fma_f64 v[32:33], v[132:133], s[0:1], -v[44:45]
	v_fma_f64 v[44:45], v[122:123], s[0:1], -v[42:43]
	v_add_f64_e32 v[24:25], v[46:47], v[24:25]
	v_mul_f64_e32 v[46:47], s[20:21], v[170:171]
	s_delay_alu instid0(VALU_DEP_4) | instskip(NEXT) | instid1(VALU_DEP_2)
	v_add_f64_e32 v[28:29], v[32:33], v[28:29]
	v_fma_f64 v[48:49], v[134:135], s[0:1], -v[46:47]
	v_fma_f64 v[32:33], v[134:135], s[0:1], v[46:47]
	s_delay_alu instid0(VALU_DEP_2) | instskip(SKIP_1) | instid1(VALU_DEP_3)
	v_add_f64_e32 v[26:27], v[48:49], v[26:27]
	v_mul_f64_e32 v[48:49], s[52:53], v[172:173]
	v_add_f64_e32 v[30:31], v[32:33], v[30:31]
	s_delay_alu instid0(VALU_DEP_2) | instskip(SKIP_1) | instid1(VALU_DEP_2)
	v_fma_f64 v[50:51], v[136:137], s[12:13], v[48:49]
	v_fma_f64 v[32:33], v[136:137], s[12:13], -v[48:49]
	v_add_f64_e32 v[24:25], v[50:51], v[24:25]
	v_mul_f64_e32 v[50:51], s[52:53], v[174:175]
	s_delay_alu instid0(VALU_DEP_3) | instskip(NEXT) | instid1(VALU_DEP_2)
	v_add_f64_e32 v[28:29], v[32:33], v[28:29]
	v_fma_f64 v[52:53], v[138:139], s[12:13], -v[50:51]
	v_fma_f64 v[32:33], v[138:139], s[12:13], v[50:51]
	s_delay_alu instid0(VALU_DEP_2) | instskip(SKIP_1) | instid1(VALU_DEP_3)
	v_add_f64_e32 v[26:27], v[52:53], v[26:27]
	v_mul_f64_e32 v[52:53], s[34:35], v[176:177]
	v_add_f64_e32 v[30:31], v[32:33], v[30:31]
	s_delay_alu instid0(VALU_DEP_2) | instskip(SKIP_1) | instid1(VALU_DEP_2)
	v_fma_f64 v[54:55], v[140:141], s[18:19], v[52:53]
	v_fma_f64 v[32:33], v[140:141], s[18:19], -v[52:53]
	v_add_f64_e32 v[24:25], v[54:55], v[24:25]
	v_mul_f64_e32 v[54:55], s[34:35], v[178:179]
	s_delay_alu instid0(VALU_DEP_3) | instskip(NEXT) | instid1(VALU_DEP_2)
	v_add_f64_e32 v[28:29], v[32:33], v[28:29]
	v_fma_f64 v[32:33], v[142:143], s[18:19], v[54:55]
	v_fma_f64 v[192:193], v[142:143], s[18:19], -v[54:55]
	s_delay_alu instid0(VALU_DEP_2) | instskip(SKIP_1) | instid1(VALU_DEP_3)
	v_add_f64_e32 v[32:33], v[32:33], v[30:31]
	v_fma_f64 v[30:31], v[144:145], s[6:7], -v[194:195]
	v_add_f64_e32 v[192:193], v[192:193], v[26:27]
	v_fma_f64 v[26:27], v[144:145], s[6:7], v[194:195]
	s_delay_alu instid0(VALU_DEP_3)
	v_add_f64_e32 v[30:31], v[30:31], v[28:29]
	v_add_f64_e32 v[28:29], v[34:35], v[32:33]
	v_fma_f64 v[32:33], v[108:109], s[12:13], v[36:37]
	v_fma_f64 v[34:35], v[112:113], s[0:1], v[38:39]
	v_fma_f64 v[36:37], v[108:109], s[12:13], -v[36:37]
	v_fma_f64 v[38:39], v[112:113], s[0:1], -v[38:39]
	v_add_f64_e32 v[26:27], v[26:27], v[24:25]
	v_fma_f64 v[24:25], v[146:147], s[6:7], -v[196:197]
	v_add_f64_e32 v[32:33], v[106:107], v[32:33]
	v_add_f64_e32 v[36:37], v[106:107], v[36:37]
	s_delay_alu instid0(VALU_DEP_3) | instskip(NEXT) | instid1(VALU_DEP_3)
	v_add_f64_e32 v[24:25], v[24:25], v[192:193]
	v_add_f64_e32 v[32:33], v[34:35], v[32:33]
	v_fma_f64 v[34:35], v[120:121], s[12:13], -v[40:41]
	s_delay_alu instid0(VALU_DEP_4) | instskip(SKIP_4) | instid1(VALU_DEP_4)
	v_add_f64_e32 v[36:37], v[38:39], v[36:37]
	v_fma_f64 v[38:39], v[120:121], s[12:13], v[40:41]
	v_fma_f64 v[40:41], v[122:123], s[0:1], v[42:43]
	v_fma_f64 v[42:43], v[146:147], s[16:17], v[204:205]
	v_add_f64_e32 v[34:35], v[60:61], v[34:35]
	v_add_f64_e32 v[38:39], v[60:61], v[38:39]
	s_delay_alu instid0(VALU_DEP_2) | instskip(SKIP_1) | instid1(VALU_DEP_3)
	v_add_f64_e32 v[34:35], v[44:45], v[34:35]
	v_mul_f64_e32 v[44:45], s[40:41], v[56:57]
	v_add_f64_e32 v[38:39], v[40:41], v[38:39]
	s_delay_alu instid0(VALU_DEP_2) | instskip(SKIP_2) | instid1(VALU_DEP_3)
	v_fma_f64 v[46:47], v[124:125], s[10:11], v[44:45]
	v_fma_f64 v[40:41], v[124:125], s[10:11], -v[44:45]
	v_mul_f64_e32 v[44:45], s[30:31], v[188:189]
	v_add_f64_e32 v[32:33], v[46:47], v[32:33]
	v_mul_f64_e32 v[46:47], s[40:41], v[58:59]
	s_delay_alu instid0(VALU_DEP_4) | instskip(NEXT) | instid1(VALU_DEP_2)
	v_add_f64_e32 v[36:37], v[40:41], v[36:37]
	v_fma_f64 v[48:49], v[126:127], s[10:11], -v[46:47]
	v_fma_f64 v[40:41], v[126:127], s[10:11], v[46:47]
	v_mul_f64_e32 v[46:47], s[24:25], v[190:191]
	s_delay_alu instid0(VALU_DEP_3) | instskip(SKIP_1) | instid1(VALU_DEP_4)
	v_add_f64_e32 v[34:35], v[48:49], v[34:35]
	v_mul_f64_e32 v[48:49], s[44:45], v[164:165]
	v_add_f64_e32 v[38:39], v[40:41], v[38:39]
	s_delay_alu instid0(VALU_DEP_2) | instskip(SKIP_2) | instid1(VALU_DEP_3)
	v_fma_f64 v[50:51], v[128:129], s[18:19], v[48:49]
	v_fma_f64 v[40:41], v[128:129], s[18:19], -v[48:49]
	v_mul_f64_e32 v[48:49], s[30:31], v[184:185]
	v_add_f64_e32 v[32:33], v[50:51], v[32:33]
	v_mul_f64_e32 v[50:51], s[44:45], v[166:167]
	s_delay_alu instid0(VALU_DEP_4) | instskip(NEXT) | instid1(VALU_DEP_2)
	v_add_f64_e32 v[36:37], v[40:41], v[36:37]
	v_fma_f64 v[52:53], v[130:131], s[18:19], -v[50:51]
	v_fma_f64 v[40:41], v[130:131], s[18:19], v[50:51]
	v_mul_f64_e32 v[50:51], s[24:25], v[186:187]
	s_delay_alu instid0(VALU_DEP_3) | instskip(SKIP_1) | instid1(VALU_DEP_4)
	v_add_f64_e32 v[34:35], v[52:53], v[34:35]
	v_mul_f64_e32 v[52:53], s[30:31], v[168:169]
	v_add_f64_e32 v[38:39], v[40:41], v[38:39]
	s_delay_alu instid0(VALU_DEP_2) | instskip(SKIP_2) | instid1(VALU_DEP_3)
	v_fma_f64 v[54:55], v[132:133], s[14:15], v[52:53]
	v_fma_f64 v[40:41], v[132:133], s[14:15], -v[52:53]
	v_fma_f64 v[52:53], v[122:123], s[6:7], -v[50:51]
	v_add_f64_e32 v[32:33], v[54:55], v[32:33]
	v_mul_f64_e32 v[54:55], s[30:31], v[170:171]
	s_delay_alu instid0(VALU_DEP_4) | instskip(NEXT) | instid1(VALU_DEP_2)
	v_add_f64_e32 v[36:37], v[40:41], v[36:37]
	v_fma_f64 v[192:193], v[134:135], s[14:15], -v[54:55]
	v_fma_f64 v[40:41], v[134:135], s[14:15], v[54:55]
	s_delay_alu instid0(VALU_DEP_2) | instskip(SKIP_1) | instid1(VALU_DEP_3)
	v_add_f64_e32 v[34:35], v[192:193], v[34:35]
	v_mul_f64_e32 v[192:193], s[22:23], v[172:173]
	v_add_f64_e32 v[38:39], v[40:41], v[38:39]
	s_delay_alu instid0(VALU_DEP_2) | instskip(SKIP_1) | instid1(VALU_DEP_2)
	v_fma_f64 v[194:195], v[136:137], s[2:3], v[192:193]
	v_fma_f64 v[40:41], v[136:137], s[2:3], -v[192:193]
	v_add_f64_e32 v[32:33], v[194:195], v[32:33]
	v_mul_f64_e32 v[194:195], s[22:23], v[174:175]
	s_delay_alu instid0(VALU_DEP_3) | instskip(NEXT) | instid1(VALU_DEP_2)
	v_add_f64_e32 v[36:37], v[40:41], v[36:37]
	v_fma_f64 v[196:197], v[138:139], s[2:3], -v[194:195]
	v_fma_f64 v[40:41], v[138:139], s[2:3], v[194:195]
	s_delay_alu instid0(VALU_DEP_2) | instskip(SKIP_1) | instid1(VALU_DEP_3)
	v_add_f64_e32 v[34:35], v[196:197], v[34:35]
	v_mul_f64_e32 v[196:197], s[48:49], v[176:177]
	v_add_f64_e32 v[38:39], v[40:41], v[38:39]
	s_delay_alu instid0(VALU_DEP_2) | instskip(SKIP_1) | instid1(VALU_DEP_2)
	v_fma_f64 v[198:199], v[140:141], s[6:7], v[196:197]
	v_fma_f64 v[40:41], v[140:141], s[6:7], -v[196:197]
	v_add_f64_e32 v[32:33], v[198:199], v[32:33]
	v_mul_f64_e32 v[198:199], s[48:49], v[178:179]
	s_delay_alu instid0(VALU_DEP_3) | instskip(NEXT) | instid1(VALU_DEP_2)
	v_add_f64_e32 v[36:37], v[40:41], v[36:37]
	v_fma_f64 v[40:41], v[142:143], s[6:7], v[198:199]
	v_fma_f64 v[200:201], v[142:143], s[6:7], -v[198:199]
	s_delay_alu instid0(VALU_DEP_2) | instskip(SKIP_1) | instid1(VALU_DEP_3)
	v_add_f64_e32 v[40:41], v[40:41], v[38:39]
	v_fma_f64 v[38:39], v[144:145], s[16:17], -v[202:203]
	v_add_f64_e32 v[200:201], v[200:201], v[34:35]
	v_fma_f64 v[34:35], v[144:145], s[16:17], v[202:203]
	s_delay_alu instid0(VALU_DEP_3)
	v_add_f64_e32 v[38:39], v[38:39], v[36:37]
	v_add_f64_e32 v[36:37], v[42:43], v[40:41]
	v_fma_f64 v[40:41], v[108:109], s[14:15], v[44:45]
	v_fma_f64 v[42:43], v[112:113], s[6:7], v[46:47]
	v_fma_f64 v[44:45], v[108:109], s[14:15], -v[44:45]
	v_fma_f64 v[46:47], v[112:113], s[6:7], -v[46:47]
	v_add_f64_e32 v[34:35], v[34:35], v[32:33]
	v_fma_f64 v[32:33], v[146:147], s[16:17], -v[204:205]
	v_add_f64_e32 v[40:41], v[106:107], v[40:41]
	v_add_f64_e32 v[44:45], v[106:107], v[44:45]
	s_delay_alu instid0(VALU_DEP_3) | instskip(NEXT) | instid1(VALU_DEP_3)
	v_add_f64_e32 v[32:33], v[32:33], v[200:201]
	v_add_f64_e32 v[40:41], v[42:43], v[40:41]
	v_fma_f64 v[42:43], v[120:121], s[14:15], -v[48:49]
	s_delay_alu instid0(VALU_DEP_4) | instskip(SKIP_4) | instid1(VALU_DEP_4)
	v_add_f64_e32 v[44:45], v[46:47], v[44:45]
	v_fma_f64 v[46:47], v[120:121], s[14:15], v[48:49]
	v_fma_f64 v[48:49], v[122:123], s[6:7], v[50:51]
	v_fma_f64 v[50:51], v[146:147], s[2:3], v[212:213]
	v_add_f64_e32 v[42:43], v[60:61], v[42:43]
	v_add_f64_e32 v[46:47], v[60:61], v[46:47]
	s_delay_alu instid0(VALU_DEP_2) | instskip(SKIP_1) | instid1(VALU_DEP_3)
	v_add_f64_e32 v[42:43], v[52:53], v[42:43]
	v_mul_f64_e32 v[52:53], s[50:51], v[56:57]
	v_add_f64_e32 v[46:47], v[48:49], v[46:47]
	s_delay_alu instid0(VALU_DEP_2) | instskip(SKIP_2) | instid1(VALU_DEP_3)
	v_fma_f64 v[54:55], v[124:125], s[0:1], v[52:53]
	v_fma_f64 v[48:49], v[124:125], s[0:1], -v[52:53]
	v_mul_f64_e32 v[52:53], s[36:37], v[188:189]
	v_add_f64_e32 v[40:41], v[54:55], v[40:41]
	v_mul_f64_e32 v[54:55], s[50:51], v[58:59]
	s_delay_alu instid0(VALU_DEP_4) | instskip(NEXT) | instid1(VALU_DEP_2)
	v_add_f64_e32 v[44:45], v[48:49], v[44:45]
	v_fma_f64 v[192:193], v[126:127], s[0:1], -v[54:55]
	v_fma_f64 v[48:49], v[126:127], s[0:1], v[54:55]
	v_mul_f64_e32 v[54:55], s[28:29], v[190:191]
	s_delay_alu instid0(VALU_DEP_3) | instskip(SKIP_1) | instid1(VALU_DEP_4)
	v_add_f64_e32 v[42:43], v[192:193], v[42:43]
	v_mul_f64_e32 v[192:193], s[40:41], v[164:165]
	v_add_f64_e32 v[46:47], v[48:49], v[46:47]
	s_delay_alu instid0(VALU_DEP_2) | instskip(SKIP_2) | instid1(VALU_DEP_3)
	v_fma_f64 v[194:195], v[128:129], s[10:11], v[192:193]
	v_fma_f64 v[48:49], v[128:129], s[10:11], -v[192:193]
	v_mul_f64_e32 v[192:193], s[36:37], v[184:185]
	v_add_f64_e32 v[40:41], v[194:195], v[40:41]
	v_mul_f64_e32 v[194:195], s[40:41], v[166:167]
	s_delay_alu instid0(VALU_DEP_4) | instskip(NEXT) | instid1(VALU_DEP_2)
	v_add_f64_e32 v[44:45], v[48:49], v[44:45]
	v_fma_f64 v[196:197], v[130:131], s[10:11], -v[194:195]
	v_fma_f64 v[48:49], v[130:131], s[10:11], v[194:195]
	v_mul_f64_e32 v[194:195], s[28:29], v[186:187]
	s_delay_alu instid0(VALU_DEP_3) | instskip(SKIP_1) | instid1(VALU_DEP_4)
	v_add_f64_e32 v[42:43], v[196:197], v[42:43]
	v_mul_f64_e32 v[196:197], s[46:47], v[168:169]
	v_add_f64_e32 v[46:47], v[48:49], v[46:47]
	s_delay_alu instid0(VALU_DEP_2) | instskip(SKIP_2) | instid1(VALU_DEP_3)
	v_fma_f64 v[198:199], v[132:133], s[16:17], v[196:197]
	v_fma_f64 v[48:49], v[132:133], s[16:17], -v[196:197]
	v_fma_f64 v[196:197], v[122:123], s[12:13], -v[194:195]
	v_add_f64_e32 v[40:41], v[198:199], v[40:41]
	v_mul_f64_e32 v[198:199], s[46:47], v[170:171]
	s_delay_alu instid0(VALU_DEP_4) | instskip(NEXT) | instid1(VALU_DEP_2)
	v_add_f64_e32 v[44:45], v[48:49], v[44:45]
	v_fma_f64 v[200:201], v[134:135], s[16:17], -v[198:199]
	v_fma_f64 v[48:49], v[134:135], s[16:17], v[198:199]
	s_delay_alu instid0(VALU_DEP_2) | instskip(SKIP_1) | instid1(VALU_DEP_3)
	v_add_f64_e32 v[42:43], v[200:201], v[42:43]
	v_mul_f64_e32 v[200:201], s[34:35], v[172:173]
	v_add_f64_e32 v[46:47], v[48:49], v[46:47]
	s_delay_alu instid0(VALU_DEP_2) | instskip(SKIP_1) | instid1(VALU_DEP_2)
	v_fma_f64 v[202:203], v[136:137], s[18:19], v[200:201]
	v_fma_f64 v[48:49], v[136:137], s[18:19], -v[200:201]
	v_add_f64_e32 v[40:41], v[202:203], v[40:41]
	v_mul_f64_e32 v[202:203], s[34:35], v[174:175]
	s_delay_alu instid0(VALU_DEP_3) | instskip(NEXT) | instid1(VALU_DEP_2)
	v_add_f64_e32 v[44:45], v[48:49], v[44:45]
	v_fma_f64 v[204:205], v[138:139], s[18:19], -v[202:203]
	v_fma_f64 v[48:49], v[138:139], s[18:19], v[202:203]
	s_delay_alu instid0(VALU_DEP_2) | instskip(SKIP_1) | instid1(VALU_DEP_3)
	v_add_f64_e32 v[42:43], v[204:205], v[42:43]
	v_mul_f64_e32 v[204:205], s[28:29], v[176:177]
	v_add_f64_e32 v[46:47], v[48:49], v[46:47]
	s_delay_alu instid0(VALU_DEP_2) | instskip(SKIP_1) | instid1(VALU_DEP_2)
	v_fma_f64 v[206:207], v[140:141], s[12:13], v[204:205]
	v_fma_f64 v[48:49], v[140:141], s[12:13], -v[204:205]
	v_add_f64_e32 v[40:41], v[206:207], v[40:41]
	v_mul_f64_e32 v[206:207], s[28:29], v[178:179]
	s_delay_alu instid0(VALU_DEP_3) | instskip(NEXT) | instid1(VALU_DEP_2)
	v_add_f64_e32 v[44:45], v[48:49], v[44:45]
	v_fma_f64 v[48:49], v[142:143], s[12:13], v[206:207]
	v_fma_f64 v[208:209], v[142:143], s[12:13], -v[206:207]
	s_delay_alu instid0(VALU_DEP_2) | instskip(SKIP_1) | instid1(VALU_DEP_3)
	v_add_f64_e32 v[48:49], v[48:49], v[46:47]
	v_fma_f64 v[46:47], v[144:145], s[2:3], -v[210:211]
	v_add_f64_e32 v[208:209], v[208:209], v[42:43]
	v_fma_f64 v[42:43], v[144:145], s[2:3], v[210:211]
	s_delay_alu instid0(VALU_DEP_3)
	v_add_f64_e32 v[46:47], v[46:47], v[44:45]
	v_add_f64_e32 v[44:45], v[50:51], v[48:49]
	v_fma_f64 v[48:49], v[108:109], s[16:17], v[52:53]
	v_fma_f64 v[50:51], v[112:113], s[12:13], v[54:55]
	v_fma_f64 v[52:53], v[108:109], s[16:17], -v[52:53]
	v_fma_f64 v[54:55], v[112:113], s[12:13], -v[54:55]
	v_add_f64_e32 v[42:43], v[42:43], v[40:41]
	v_fma_f64 v[40:41], v[146:147], s[2:3], -v[212:213]
	v_add_f64_e32 v[48:49], v[106:107], v[48:49]
	v_add_f64_e32 v[52:53], v[106:107], v[52:53]
	s_delay_alu instid0(VALU_DEP_3) | instskip(NEXT) | instid1(VALU_DEP_3)
	v_add_f64_e32 v[40:41], v[40:41], v[208:209]
	v_add_f64_e32 v[48:49], v[50:51], v[48:49]
	v_fma_f64 v[50:51], v[120:121], s[16:17], -v[192:193]
	s_delay_alu instid0(VALU_DEP_4) | instskip(SKIP_4) | instid1(VALU_DEP_4)
	v_add_f64_e32 v[52:53], v[54:55], v[52:53]
	v_fma_f64 v[54:55], v[120:121], s[16:17], v[192:193]
	v_fma_f64 v[192:193], v[122:123], s[12:13], v[194:195]
	;; [unrolled: 1-line block ×3, first 2 shown]
	v_add_f64_e32 v[50:51], v[60:61], v[50:51]
	v_add_f64_e32 v[54:55], v[60:61], v[54:55]
	s_delay_alu instid0(VALU_DEP_2) | instskip(SKIP_1) | instid1(VALU_DEP_3)
	v_add_f64_e32 v[50:51], v[196:197], v[50:51]
	v_mul_f64_e32 v[196:197], s[24:25], v[56:57]
	v_add_f64_e32 v[54:55], v[192:193], v[54:55]
	s_delay_alu instid0(VALU_DEP_2) | instskip(SKIP_1) | instid1(VALU_DEP_2)
	v_fma_f64 v[198:199], v[124:125], s[6:7], v[196:197]
	v_fma_f64 v[192:193], v[124:125], s[6:7], -v[196:197]
	v_add_f64_e32 v[48:49], v[198:199], v[48:49]
	v_mul_f64_e32 v[198:199], s[24:25], v[58:59]
	s_delay_alu instid0(VALU_DEP_3) | instskip(NEXT) | instid1(VALU_DEP_2)
	v_add_f64_e32 v[52:53], v[192:193], v[52:53]
	v_fma_f64 v[200:201], v[126:127], s[6:7], -v[198:199]
	v_fma_f64 v[192:193], v[126:127], s[6:7], v[198:199]
	v_mul_f64_e32 v[198:199], s[22:23], v[178:179]
	s_delay_alu instid0(VALU_DEP_3) | instskip(SKIP_1) | instid1(VALU_DEP_4)
	v_add_f64_e32 v[50:51], v[200:201], v[50:51]
	v_mul_f64_e32 v[200:201], s[20:21], v[164:165]
	v_add_f64_e32 v[54:55], v[192:193], v[54:55]
	v_mul_f64_e32 v[164:165], s[28:29], v[164:165]
	s_delay_alu instid0(VALU_DEP_3) | instskip(SKIP_1) | instid1(VALU_DEP_2)
	v_fma_f64 v[202:203], v[128:129], s[0:1], v[200:201]
	v_fma_f64 v[192:193], v[128:129], s[0:1], -v[200:201]
	v_add_f64_e32 v[48:49], v[202:203], v[48:49]
	v_mul_f64_e32 v[202:203], s[20:21], v[166:167]
	s_delay_alu instid0(VALU_DEP_3) | instskip(NEXT) | instid1(VALU_DEP_2)
	v_add_f64_e32 v[52:53], v[192:193], v[52:53]
	v_fma_f64 v[204:205], v[130:131], s[0:1], -v[202:203]
	v_fma_f64 v[192:193], v[130:131], s[0:1], v[202:203]
	s_delay_alu instid0(VALU_DEP_2) | instskip(SKIP_1) | instid1(VALU_DEP_3)
	v_add_f64_e32 v[50:51], v[204:205], v[50:51]
	v_mul_f64_e32 v[204:205], s[42:43], v[168:169]
	v_add_f64_e32 v[54:55], v[192:193], v[54:55]
	s_delay_alu instid0(VALU_DEP_2) | instskip(SKIP_1) | instid1(VALU_DEP_2)
	v_fma_f64 v[206:207], v[132:133], s[2:3], v[204:205]
	v_fma_f64 v[192:193], v[132:133], s[2:3], -v[204:205]
	v_add_f64_e32 v[48:49], v[206:207], v[48:49]
	v_mul_f64_e32 v[206:207], s[42:43], v[170:171]
	s_delay_alu instid0(VALU_DEP_3) | instskip(SKIP_1) | instid1(VALU_DEP_3)
	v_add_f64_e32 v[52:53], v[192:193], v[52:53]
	v_mul_f64_e32 v[170:171], s[26:27], v[170:171]
	v_fma_f64 v[208:209], v[134:135], s[2:3], -v[206:207]
	v_fma_f64 v[192:193], v[134:135], s[2:3], v[206:207]
	s_delay_alu instid0(VALU_DEP_2) | instskip(SKIP_1) | instid1(VALU_DEP_3)
	v_add_f64_e32 v[50:51], v[208:209], v[50:51]
	v_mul_f64_e32 v[208:209], s[40:41], v[172:173]
	v_add_f64_e32 v[54:55], v[192:193], v[54:55]
	s_delay_alu instid0(VALU_DEP_2) | instskip(SKIP_1) | instid1(VALU_DEP_2)
	v_fma_f64 v[210:211], v[136:137], s[10:11], v[208:209]
	v_fma_f64 v[192:193], v[136:137], s[10:11], -v[208:209]
	v_add_f64_e32 v[48:49], v[210:211], v[48:49]
	v_mul_f64_e32 v[210:211], s[40:41], v[174:175]
	s_delay_alu instid0(VALU_DEP_3) | instskip(SKIP_1) | instid1(VALU_DEP_3)
	v_add_f64_e32 v[52:53], v[192:193], v[52:53]
	v_mul_f64_e32 v[174:175], s[24:25], v[174:175]
	;; [unrolled: 14-line block ×3, first 2 shown]
	v_fma_f64 v[192:193], v[142:143], s[14:15], v[214:215]
	v_fma_f64 v[216:217], v[142:143], s[14:15], -v[214:215]
	s_delay_alu instid0(VALU_DEP_2) | instskip(SKIP_1) | instid1(VALU_DEP_3)
	v_add_f64_e32 v[192:193], v[192:193], v[54:55]
	v_fma_f64 v[54:55], v[144:145], s[18:19], -v[218:219]
	v_add_f64_e32 v[216:217], v[216:217], v[50:51]
	v_fma_f64 v[50:51], v[144:145], s[18:19], v[218:219]
	s_delay_alu instid0(VALU_DEP_3)
	v_add_f64_e32 v[54:55], v[54:55], v[52:53]
	v_add_f64_e32 v[52:53], v[194:195], v[192:193]
	v_mul_f64_e32 v[192:193], s[34:35], v[188:189]
	v_mul_f64_e32 v[188:189], s[36:37], v[190:191]
	v_add_f64_e32 v[50:51], v[50:51], v[48:49]
	v_fma_f64 v[48:49], v[146:147], s[18:19], -v[220:221]
	s_delay_alu instid0(VALU_DEP_4) | instskip(NEXT) | instid1(VALU_DEP_4)
	v_fma_f64 v[190:191], v[108:109], s[18:19], -v[192:193]
	v_fma_f64 v[194:195], v[112:113], s[16:17], -v[188:189]
	v_fma_f64 v[66:67], v[108:109], s[18:19], v[192:193]
	v_fma_f64 v[74:75], v[112:113], s[16:17], v[188:189]
	v_add_f64_e32 v[48:49], v[48:49], v[216:217]
	v_add_f64_e32 v[190:191], v[106:107], v[190:191]
	s_delay_alu instid0(VALU_DEP_4) | instskip(NEXT) | instid1(VALU_DEP_2)
	v_add_f64_e32 v[66:67], v[106:107], v[66:67]
	v_add_f64_e32 v[194:195], v[194:195], v[190:191]
	v_mul_f64_e32 v[190:191], s[34:35], v[184:185]
	v_mul_f64_e32 v[184:185], s[36:37], v[186:187]
	s_delay_alu instid0(VALU_DEP_4) | instskip(SKIP_1) | instid1(VALU_DEP_4)
	v_add_f64_e32 v[66:67], v[74:75], v[66:67]
	v_fma_f64 v[74:75], v[128:129], s[12:13], v[164:165]
	v_fma_f64 v[186:187], v[120:121], s[18:19], v[190:191]
	s_delay_alu instid0(VALU_DEP_4) | instskip(SKIP_2) | instid1(VALU_DEP_4)
	v_fma_f64 v[196:197], v[122:123], s[16:17], v[184:185]
	v_fma_f64 v[72:73], v[120:121], s[18:19], -v[190:191]
	v_fma_f64 v[76:77], v[122:123], s[16:17], -v[184:185]
	v_add_f64_e32 v[186:187], v[60:61], v[186:187]
	s_delay_alu instid0(VALU_DEP_3) | instskip(NEXT) | instid1(VALU_DEP_2)
	v_add_f64_e32 v[60:61], v[60:61], v[72:73]
	v_add_f64_e32 v[196:197], v[196:197], v[186:187]
	v_mul_f64_e32 v[186:187], s[30:31], v[56:57]
	s_delay_alu instid0(VALU_DEP_3) | instskip(NEXT) | instid1(VALU_DEP_2)
	v_add_f64_e32 v[60:61], v[76:77], v[60:61]
	v_fma_f64 v[56:57], v[124:125], s[14:15], -v[186:187]
	v_fma_f64 v[72:73], v[124:125], s[14:15], v[186:187]
	s_delay_alu instid0(VALU_DEP_2) | instskip(SKIP_1) | instid1(VALU_DEP_3)
	v_add_f64_e32 v[56:57], v[56:57], v[194:195]
	v_mul_f64_e32 v[194:195], s[30:31], v[58:59]
	v_add_f64_e32 v[66:67], v[72:73], v[66:67]
	s_delay_alu instid0(VALU_DEP_2) | instskip(SKIP_1) | instid1(VALU_DEP_3)
	v_fma_f64 v[58:59], v[126:127], s[14:15], v[194:195]
	v_fma_f64 v[78:79], v[126:127], s[14:15], -v[194:195]
	v_add_f64_e32 v[66:67], v[74:75], v[66:67]
	s_delay_alu instid0(VALU_DEP_3) | instskip(SKIP_1) | instid1(VALU_DEP_4)
	v_add_f64_e32 v[58:59], v[58:59], v[196:197]
	v_fma_f64 v[196:197], v[128:129], s[12:13], -v[164:165]
	v_add_f64_e32 v[60:61], v[78:79], v[60:61]
	v_fma_f64 v[78:79], v[134:135], s[10:11], -v[170:171]
	s_delay_alu instid0(VALU_DEP_3) | instskip(SKIP_1) | instid1(VALU_DEP_1)
	v_add_f64_e32 v[56:57], v[196:197], v[56:57]
	v_mul_f64_e32 v[196:197], s[28:29], v[166:167]
	v_fma_f64 v[166:167], v[130:131], s[12:13], v[196:197]
	v_fma_f64 v[76:77], v[130:131], s[12:13], -v[196:197]
	s_delay_alu instid0(VALU_DEP_2) | instskip(SKIP_1) | instid1(VALU_DEP_3)
	v_add_f64_e32 v[58:59], v[166:167], v[58:59]
	v_mul_f64_e32 v[166:167], s[26:27], v[168:169]
	v_add_f64_e32 v[60:61], v[76:77], v[60:61]
	v_fma_f64 v[76:77], v[138:139], s[6:7], -v[174:175]
	s_delay_alu instid0(VALU_DEP_3) | instskip(SKIP_1) | instid1(VALU_DEP_4)
	v_fma_f64 v[168:169], v[132:133], s[10:11], -v[166:167]
	v_fma_f64 v[72:73], v[132:133], s[10:11], v[166:167]
	v_add_f64_e32 v[60:61], v[78:79], v[60:61]
	v_fma_f64 v[78:79], v[142:143], s[2:3], -v[198:199]
	s_delay_alu instid0(VALU_DEP_4) | instskip(SKIP_4) | instid1(VALU_DEP_4)
	v_add_f64_e32 v[56:57], v[168:169], v[56:57]
	v_fma_f64 v[168:169], v[134:135], s[10:11], v[170:171]
	v_add_f64_e32 v[66:67], v[72:73], v[66:67]
	v_add_f64_e32 v[60:61], v[76:77], v[60:61]
	v_fma_f64 v[76:77], v[146:147], s[0:1], -v[178:179]
	v_add_f64_e32 v[58:59], v[168:169], v[58:59]
	v_mul_f64_e32 v[168:169], s[24:25], v[172:173]
	s_delay_alu instid0(VALU_DEP_4) | instskip(NEXT) | instid1(VALU_DEP_2)
	v_add_f64_e32 v[60:61], v[78:79], v[60:61]
	v_fma_f64 v[172:173], v[136:137], s[6:7], -v[168:169]
	v_fma_f64 v[74:75], v[136:137], s[6:7], v[168:169]
	s_delay_alu instid0(VALU_DEP_2) | instskip(SKIP_1) | instid1(VALU_DEP_3)
	v_add_f64_e32 v[56:57], v[172:173], v[56:57]
	v_fma_f64 v[172:173], v[138:139], s[6:7], v[174:175]
	v_add_f64_e32 v[66:67], v[74:75], v[66:67]
	s_delay_alu instid0(VALU_DEP_2) | instskip(SKIP_1) | instid1(VALU_DEP_1)
	v_add_f64_e32 v[58:59], v[172:173], v[58:59]
	v_mul_f64_e32 v[172:173], s[22:23], v[176:177]
	v_fma_f64 v[176:177], v[140:141], s[2:3], -v[172:173]
	v_fma_f64 v[72:73], v[140:141], s[2:3], v[172:173]
	s_delay_alu instid0(VALU_DEP_2) | instskip(SKIP_1) | instid1(VALU_DEP_3)
	v_add_f64_e32 v[56:57], v[176:177], v[56:57]
	v_fma_f64 v[176:177], v[142:143], s[2:3], v[198:199]
	v_add_f64_e32 v[66:67], v[72:73], v[66:67]
	v_add_f64_e32 v[72:73], v[76:77], v[60:61]
	v_lshlrev_b64_e32 v[60:61], 4, v[70:71]
	s_delay_alu instid0(VALU_DEP_4) | instskip(SKIP_1) | instid1(VALU_DEP_1)
	v_add_f64_e32 v[200:201], v[176:177], v[58:59]
	v_mul_f64_e32 v[176:177], s[20:21], v[180:181]
	v_fma_f64 v[58:59], v[144:145], s[0:1], -v[176:177]
	v_fma_f64 v[74:75], v[144:145], s[0:1], v[176:177]
	s_delay_alu instid0(VALU_DEP_2) | instskip(SKIP_1) | instid1(VALU_DEP_3)
	v_add_f64_e32 v[58:59], v[58:59], v[56:57]
	v_fma_f64 v[56:57], v[146:147], s[0:1], v[178:179]
	v_add_f64_e32 v[74:75], v[74:75], v[66:67]
	v_add_co_u32 v66, vcc_lo, s8, v68
	s_wait_alu 0xfffd
	v_add_co_ci_u32_e32 v67, vcc_lo, s9, v69, vcc_lo
	s_delay_alu instid0(VALU_DEP_2) | instskip(SKIP_1) | instid1(VALU_DEP_2)
	v_add_co_u32 v60, vcc_lo, v66, v60
	s_wait_alu 0xfffd
	v_add_co_ci_u32_e32 v61, vcc_lo, v67, v61, vcc_lo
	v_add_f64_e32 v[56:57], v[56:57], v[200:201]
	s_clause 0x10
	global_store_b128 v[60:61], v[52:55], off offset:544
	global_store_b128 v[60:61], v[44:47], off offset:816
	;; [unrolled: 1-line block ×15, first 2 shown]
	global_store_b128 v[60:61], v[62:65], off
	global_store_b128 v[60:61], v[72:75], off offset:4352
.LBB0_12:
	s_nop 0
	s_sendmsg sendmsg(MSG_DEALLOC_VGPRS)
	s_endpgm
	.section	.rodata,"a",@progbits
	.p2align	6, 0x0
	.amdhsa_kernel fft_rtc_back_len289_factors_17_17_wgs_119_tpt_17_halfLds_dp_ip_CI_unitstride_sbrr_dirReg
		.amdhsa_group_segment_fixed_size 0
		.amdhsa_private_segment_fixed_size 0
		.amdhsa_kernarg_size 88
		.amdhsa_user_sgpr_count 2
		.amdhsa_user_sgpr_dispatch_ptr 0
		.amdhsa_user_sgpr_queue_ptr 0
		.amdhsa_user_sgpr_kernarg_segment_ptr 1
		.amdhsa_user_sgpr_dispatch_id 0
		.amdhsa_user_sgpr_private_segment_size 0
		.amdhsa_wavefront_size32 1
		.amdhsa_uses_dynamic_stack 0
		.amdhsa_enable_private_segment 0
		.amdhsa_system_sgpr_workgroup_id_x 1
		.amdhsa_system_sgpr_workgroup_id_y 0
		.amdhsa_system_sgpr_workgroup_id_z 0
		.amdhsa_system_sgpr_workgroup_info 0
		.amdhsa_system_vgpr_workitem_id 0
		.amdhsa_next_free_vgpr 222
		.amdhsa_next_free_sgpr 54
		.amdhsa_reserve_vcc 1
		.amdhsa_float_round_mode_32 0
		.amdhsa_float_round_mode_16_64 0
		.amdhsa_float_denorm_mode_32 3
		.amdhsa_float_denorm_mode_16_64 3
		.amdhsa_fp16_overflow 0
		.amdhsa_workgroup_processor_mode 1
		.amdhsa_memory_ordered 1
		.amdhsa_forward_progress 0
		.amdhsa_round_robin_scheduling 0
		.amdhsa_exception_fp_ieee_invalid_op 0
		.amdhsa_exception_fp_denorm_src 0
		.amdhsa_exception_fp_ieee_div_zero 0
		.amdhsa_exception_fp_ieee_overflow 0
		.amdhsa_exception_fp_ieee_underflow 0
		.amdhsa_exception_fp_ieee_inexact 0
		.amdhsa_exception_int_div_zero 0
	.end_amdhsa_kernel
	.text
.Lfunc_end0:
	.size	fft_rtc_back_len289_factors_17_17_wgs_119_tpt_17_halfLds_dp_ip_CI_unitstride_sbrr_dirReg, .Lfunc_end0-fft_rtc_back_len289_factors_17_17_wgs_119_tpt_17_halfLds_dp_ip_CI_unitstride_sbrr_dirReg
                                        ; -- End function
	.section	.AMDGPU.csdata,"",@progbits
; Kernel info:
; codeLenInByte = 12556
; NumSgprs: 56
; NumVgprs: 222
; ScratchSize: 0
; MemoryBound: 1
; FloatMode: 240
; IeeeMode: 1
; LDSByteSize: 0 bytes/workgroup (compile time only)
; SGPRBlocks: 6
; VGPRBlocks: 27
; NumSGPRsForWavesPerEU: 56
; NumVGPRsForWavesPerEU: 222
; Occupancy: 6
; WaveLimiterHint : 1
; COMPUTE_PGM_RSRC2:SCRATCH_EN: 0
; COMPUTE_PGM_RSRC2:USER_SGPR: 2
; COMPUTE_PGM_RSRC2:TRAP_HANDLER: 0
; COMPUTE_PGM_RSRC2:TGID_X_EN: 1
; COMPUTE_PGM_RSRC2:TGID_Y_EN: 0
; COMPUTE_PGM_RSRC2:TGID_Z_EN: 0
; COMPUTE_PGM_RSRC2:TIDIG_COMP_CNT: 0
	.text
	.p2alignl 7, 3214868480
	.fill 96, 4, 3214868480
	.type	__hip_cuid_440d541aca502c62,@object ; @__hip_cuid_440d541aca502c62
	.section	.bss,"aw",@nobits
	.globl	__hip_cuid_440d541aca502c62
__hip_cuid_440d541aca502c62:
	.byte	0                               ; 0x0
	.size	__hip_cuid_440d541aca502c62, 1

	.ident	"AMD clang version 19.0.0git (https://github.com/RadeonOpenCompute/llvm-project roc-6.4.0 25133 c7fe45cf4b819c5991fe208aaa96edf142730f1d)"
	.section	".note.GNU-stack","",@progbits
	.addrsig
	.addrsig_sym __hip_cuid_440d541aca502c62
	.amdgpu_metadata
---
amdhsa.kernels:
  - .args:
      - .actual_access:  read_only
        .address_space:  global
        .offset:         0
        .size:           8
        .value_kind:     global_buffer
      - .offset:         8
        .size:           8
        .value_kind:     by_value
      - .actual_access:  read_only
        .address_space:  global
        .offset:         16
        .size:           8
        .value_kind:     global_buffer
      - .actual_access:  read_only
        .address_space:  global
        .offset:         24
        .size:           8
        .value_kind:     global_buffer
      - .offset:         32
        .size:           8
        .value_kind:     by_value
      - .actual_access:  read_only
        .address_space:  global
        .offset:         40
        .size:           8
        .value_kind:     global_buffer
      - .actual_access:  read_only
        .address_space:  global
        .offset:         48
        .size:           8
        .value_kind:     global_buffer
      - .offset:         56
        .size:           4
        .value_kind:     by_value
      - .actual_access:  read_only
        .address_space:  global
        .offset:         64
        .size:           8
        .value_kind:     global_buffer
      - .actual_access:  read_only
        .address_space:  global
        .offset:         72
        .size:           8
        .value_kind:     global_buffer
      - .address_space:  global
        .offset:         80
        .size:           8
        .value_kind:     global_buffer
    .group_segment_fixed_size: 0
    .kernarg_segment_align: 8
    .kernarg_segment_size: 88
    .language:       OpenCL C
    .language_version:
      - 2
      - 0
    .max_flat_workgroup_size: 119
    .name:           fft_rtc_back_len289_factors_17_17_wgs_119_tpt_17_halfLds_dp_ip_CI_unitstride_sbrr_dirReg
    .private_segment_fixed_size: 0
    .sgpr_count:     56
    .sgpr_spill_count: 0
    .symbol:         fft_rtc_back_len289_factors_17_17_wgs_119_tpt_17_halfLds_dp_ip_CI_unitstride_sbrr_dirReg.kd
    .uniform_work_group_size: 1
    .uses_dynamic_stack: false
    .vgpr_count:     222
    .vgpr_spill_count: 0
    .wavefront_size: 32
    .workgroup_processor_mode: 1
amdhsa.target:   amdgcn-amd-amdhsa--gfx1201
amdhsa.version:
  - 1
  - 2
...

	.end_amdgpu_metadata
